;; amdgpu-corpus repo=zjin-lcf/HeCBench kind=compiled arch=gfx1250 opt=O3
	.amdgcn_target "amdgcn-amd-amdhsa--gfx1250"
	.amdhsa_code_object_version 6
	.text
	.protected	_Z17kernel_find_indexPKfS0_S0_S0_PfS1_i ; -- Begin function _Z17kernel_find_indexPKfS0_S0_S0_PfS1_i
	.globl	_Z17kernel_find_indexPKfS0_S0_S0_PfS1_i
	.p2align	8
	.type	_Z17kernel_find_indexPKfS0_S0_S0_PfS1_i,@function
_Z17kernel_find_indexPKfS0_S0_S0_PfS1_i: ; @_Z17kernel_find_indexPKfS0_S0_S0_PfS1_i
; %bb.0:
	s_clause 0x1
	s_load_b32 s2, s[0:1], 0x44
	s_load_b32 s12, s[0:1], 0x30
	s_bfe_u32 s3, ttmp6, 0x4000c
	s_and_b32 s4, ttmp6, 15
	s_add_co_i32 s3, s3, 1
	s_getreg_b32 s5, hwreg(HW_REG_IB_STS2, 6, 4)
	s_mul_i32 s3, ttmp9, s3
	s_delay_alu instid0(SALU_CYCLE_1) | instskip(SKIP_4) | instid1(SALU_CYCLE_1)
	s_add_co_i32 s4, s4, s3
	s_wait_kmcnt 0x0
	s_and_b32 s2, s2, 0xffff
	s_cmp_eq_u32 s5, 0
	s_cselect_b32 s3, ttmp9, s4
	v_mad_u32 v0, s3, s2, v0
	s_mov_b32 s2, exec_lo
	s_delay_alu instid0(VALU_DEP_1)
	v_cmpx_gt_i32_e64 s12, v0
	s_cbranch_execz .LBB0_9
; %bb.1:
	s_load_b128 s[4:7], s[0:1], 0x0
	v_ashrrev_i32_e32 v1, 31, v0
	s_cmp_lt_i32 s12, 1
	s_cbranch_scc1 .LBB0_7
; %bb.2:
	s_load_b128 s[8:11], s[0:1], 0x10
	s_mov_b32 s2, 0
	s_mov_b32 s3, 0
	s_wait_kmcnt 0x0
	v_lshl_add_u64 v[2:3], v[0:1], 2, s[10:11]
                                        ; implicit-def: $sgpr10
	global_load_b32 v2, v[2:3], off
	s_branch .LBB0_4
.LBB0_3:                                ;   in Loop: Header=BB0_4 Depth=1
	s_or_b32 exec_lo, exec_lo, s11
	s_delay_alu instid0(SALU_CYCLE_1) | instskip(NEXT) | instid1(SALU_CYCLE_1)
	s_and_b32 s11, exec_lo, s10
	s_or_b32 s2, s11, s2
	s_delay_alu instid0(SALU_CYCLE_1)
	s_and_not1_b32 exec_lo, exec_lo, s2
	s_cbranch_execz .LBB0_6
.LBB0_4:                                ; =>This Inner Loop Header: Depth=1
	s_load_b32 s11, s[8:9], 0x0
	v_mov_b32_e32 v3, s3
	s_or_b32 s10, s10, exec_lo
	s_wait_loadcnt 0x0
	s_wait_kmcnt 0x0
	v_cmp_nge_f32_e32 vcc_lo, s11, v2
	s_and_saveexec_b32 s11, vcc_lo
	s_cbranch_execz .LBB0_3
; %bb.5:                                ;   in Loop: Header=BB0_4 Depth=1
	s_add_co_i32 s3, s3, 1
	v_mov_b32_e32 v3, -1
	s_cmp_eq_u32 s12, s3
	s_add_nc_u64 s[8:9], s[8:9], 4
	s_cselect_b32 s13, -1, 0
	s_and_not1_b32 s10, s10, exec_lo
	s_and_b32 s13, s13, exec_lo
	s_delay_alu instid0(SALU_CYCLE_1)
	s_or_b32 s10, s10, s13
	s_branch .LBB0_3
.LBB0_6:
	s_or_b32 exec_lo, exec_lo, s2
	s_branch .LBB0_8
.LBB0_7:
	v_mov_b32_e32 v3, -1
.LBB0_8:
	s_delay_alu instid0(VALU_DEP_1)
	v_cmp_eq_u32_e32 vcc_lo, -1, v3
	s_add_co_i32 s12, s12, -1
	s_wait_xcnt 0x0
	s_load_b128 s[0:3], s[0:1], 0x20
	v_lshlrev_b64_e32 v[0:1], 2, v[0:1]
	v_cndmask_b32_e64 v2, v3, s12, vcc_lo
	s_wait_kmcnt 0x0
	s_clause 0x1
	global_load_b32 v4, v2, s[4:5] scale_offset
	global_load_b32 v5, v2, s[6:7] scale_offset
	s_wait_xcnt 0x0
	v_add_nc_u64_e32 v[2:3], s[0:1], v[0:1]
	v_add_nc_u64_e32 v[0:1], s[2:3], v[0:1]
	s_wait_loadcnt 0x1
	global_store_b32 v[2:3], v4, off
	s_wait_loadcnt 0x0
	global_store_b32 v[0:1], v5, off
.LBB0_9:
	s_endpgm
	.section	.rodata,"a",@progbits
	.p2align	6, 0x0
	.amdhsa_kernel _Z17kernel_find_indexPKfS0_S0_S0_PfS1_i
		.amdhsa_group_segment_fixed_size 0
		.amdhsa_private_segment_fixed_size 0
		.amdhsa_kernarg_size 312
		.amdhsa_user_sgpr_count 2
		.amdhsa_user_sgpr_dispatch_ptr 0
		.amdhsa_user_sgpr_queue_ptr 0
		.amdhsa_user_sgpr_kernarg_segment_ptr 1
		.amdhsa_user_sgpr_dispatch_id 0
		.amdhsa_user_sgpr_kernarg_preload_length 0
		.amdhsa_user_sgpr_kernarg_preload_offset 0
		.amdhsa_user_sgpr_private_segment_size 0
		.amdhsa_wavefront_size32 1
		.amdhsa_uses_dynamic_stack 0
		.amdhsa_enable_private_segment 0
		.amdhsa_system_sgpr_workgroup_id_x 1
		.amdhsa_system_sgpr_workgroup_id_y 0
		.amdhsa_system_sgpr_workgroup_id_z 0
		.amdhsa_system_sgpr_workgroup_info 0
		.amdhsa_system_vgpr_workitem_id 0
		.amdhsa_next_free_vgpr 6
		.amdhsa_next_free_sgpr 14
		.amdhsa_named_barrier_count 0
		.amdhsa_reserve_vcc 1
		.amdhsa_float_round_mode_32 0
		.amdhsa_float_round_mode_16_64 0
		.amdhsa_float_denorm_mode_32 3
		.amdhsa_float_denorm_mode_16_64 3
		.amdhsa_fp16_overflow 0
		.amdhsa_memory_ordered 1
		.amdhsa_forward_progress 1
		.amdhsa_inst_pref_size 4
		.amdhsa_round_robin_scheduling 0
		.amdhsa_exception_fp_ieee_invalid_op 0
		.amdhsa_exception_fp_denorm_src 0
		.amdhsa_exception_fp_ieee_div_zero 0
		.amdhsa_exception_fp_ieee_overflow 0
		.amdhsa_exception_fp_ieee_underflow 0
		.amdhsa_exception_fp_ieee_inexact 0
		.amdhsa_exception_int_div_zero 0
	.end_amdhsa_kernel
	.text
.Lfunc_end0:
	.size	_Z17kernel_find_indexPKfS0_S0_S0_PfS1_i, .Lfunc_end0-_Z17kernel_find_indexPKfS0_S0_S0_PfS1_i
                                        ; -- End function
	.set _Z17kernel_find_indexPKfS0_S0_S0_PfS1_i.num_vgpr, 6
	.set _Z17kernel_find_indexPKfS0_S0_S0_PfS1_i.num_agpr, 0
	.set _Z17kernel_find_indexPKfS0_S0_S0_PfS1_i.numbered_sgpr, 14
	.set _Z17kernel_find_indexPKfS0_S0_S0_PfS1_i.num_named_barrier, 0
	.set _Z17kernel_find_indexPKfS0_S0_S0_PfS1_i.private_seg_size, 0
	.set _Z17kernel_find_indexPKfS0_S0_S0_PfS1_i.uses_vcc, 1
	.set _Z17kernel_find_indexPKfS0_S0_S0_PfS1_i.uses_flat_scratch, 0
	.set _Z17kernel_find_indexPKfS0_S0_S0_PfS1_i.has_dyn_sized_stack, 0
	.set _Z17kernel_find_indexPKfS0_S0_S0_PfS1_i.has_recursion, 0
	.set _Z17kernel_find_indexPKfS0_S0_S0_PfS1_i.has_indirect_call, 0
	.section	.AMDGPU.csdata,"",@progbits
; Kernel info:
; codeLenInByte = 396
; TotalNumSgprs: 16
; NumVgprs: 6
; ScratchSize: 0
; MemoryBound: 0
; FloatMode: 240
; IeeeMode: 1
; LDSByteSize: 0 bytes/workgroup (compile time only)
; SGPRBlocks: 0
; VGPRBlocks: 0
; NumSGPRsForWavesPerEU: 16
; NumVGPRsForWavesPerEU: 6
; NamedBarCnt: 0
; Occupancy: 16
; WaveLimiterHint : 0
; COMPUTE_PGM_RSRC2:SCRATCH_EN: 0
; COMPUTE_PGM_RSRC2:USER_SGPR: 2
; COMPUTE_PGM_RSRC2:TRAP_HANDLER: 0
; COMPUTE_PGM_RSRC2:TGID_X_EN: 1
; COMPUTE_PGM_RSRC2:TGID_Y_EN: 0
; COMPUTE_PGM_RSRC2:TGID_Z_EN: 0
; COMPUTE_PGM_RSRC2:TIDIG_COMP_CNT: 0
	.text
	.protected	_Z17kernel_likelihoodPfS_PKfS1_PiPKiS_PKhS_S2_S_iiiiii ; -- Begin function _Z17kernel_likelihoodPfS_PKfS1_PiPKiS_PKhS_S2_S_iiiiii
	.globl	_Z17kernel_likelihoodPfS_PKfS1_PiPKiS_PKhS_S2_S_iiiiii
	.p2align	8
	.type	_Z17kernel_likelihoodPfS_PKfS1_PiPKiS_PKhS_S2_S_iiiiii,@function
_Z17kernel_likelihoodPfS_PKfS1_PiPKiS_PKhS_S2_S_iiiiii: ; @_Z17kernel_likelihoodPfS_PKfS1_PiPKiS_PKhS_S2_S_iiiiii
; %bb.0:
	s_clause 0x1
	s_load_b32 s2, s[0:1], 0x7c
	s_load_b64 s[22:23], s[0:1], 0x68
	s_bfe_u32 s3, ttmp6, 0x4000c
	s_clause 0x1
	s_load_b64 s[20:21], s[0:1], 0x50
	s_load_b128 s[4:7], s[0:1], 0x58
	s_add_co_i32 s3, s3, 1
	s_and_b32 s8, ttmp6, 15
	s_mul_i32 s3, ttmp9, s3
	s_getreg_b32 s9, hwreg(HW_REG_IB_STS2, 6, 4)
	s_add_co_i32 s3, s8, s3
	s_cmp_eq_u32 s9, 0
	s_clause 0x1
	s_load_b128 s[8:11], s[0:1], 0x38
	s_load_b128 s[12:15], s[0:1], 0x0
	s_cselect_b32 s26, ttmp9, s3
	s_wait_kmcnt 0x0
	s_and_b32 s2, s2, 0xffff
	s_delay_alu instid0(SALU_CYCLE_1) | instskip(NEXT) | instid1(VALU_DEP_1)
	v_mad_u32 v2, s26, s2, v0
	v_cmp_gt_i32_e64 s2, s4, v2
	v_ashrrev_i32_e32 v3, 31, v2
	s_and_saveexec_b32 s18, s2
	s_cbranch_execz .LBB1_10
; %bb.1:
	s_clause 0x1
	s_load_b128 s[28:31], s[0:1], 0x10
	s_load_b64 s[16:17], s[0:1], 0x48
	s_mov_b32 s3, 0x41c64e6d
	s_wait_kmcnt 0x0
	s_clause 0x2
	global_load_b32 v1, v2, s[30:31] scale_offset
	global_load_b32 v4, v2, s[16:17] scale_offset
	;; [unrolled: 1-line block ×3, first 2 shown]
	s_wait_loadcnt 0x1
	v_mad_u32 v4, v4, s3, 0x3039
	s_delay_alu instid0(VALU_DEP_1) | instskip(NEXT) | instid1(VALU_DEP_1)
	v_mul_hi_i32 v5, 0x40000001, v4
	v_dual_lshrrev_b32 v7, 31, v5 :: v_dual_ashrrev_i32 v5, 29, v5
	s_delay_alu instid0(VALU_DEP_1) | instskip(NEXT) | instid1(VALU_DEP_1)
	v_add_nc_u32_e32 v5, v5, v7
	v_mul_lo_u32 v5, 0x7fffffff, v5
	s_delay_alu instid0(VALU_DEP_1) | instskip(NEXT) | instid1(VALU_DEP_1)
	v_sub_nc_u32_e32 v9, v4, v5
	v_mad_u32 v4, v9, s3, 0x3039
	s_cvt_f32_i32 s3, s4
	s_delay_alu instid0(SALU_CYCLE_3) | instskip(NEXT) | instid1(VALU_DEP_1)
	v_div_scale_f32 v7, null, s3, s3, 1.0
	v_rcp_f32_e32 v10, v7
	s_delay_alu instid0(VALU_DEP_2)
	v_mul_hi_i32 v5, 0x40000001, v4
	v_xor_b32_e32 v7, 0x80000000, v7
	s_delay_alu instid0(TRANS32_DEP_1) | instid1(VALU_DEP_1)
	v_fma_f32 v11, v7, v10, 1.0
	s_delay_alu instid0(VALU_DEP_1) | instskip(SKIP_1) | instid1(VALU_DEP_1)
	v_dual_fmac_f32 v10, v11, v10 :: v_dual_lshrrev_b32 v8, 31, v5
	v_div_scale_f32 v11, vcc_lo, 1.0, s3, 1.0
	v_dual_mul_f32 v12, v11, v10 :: v_dual_ashrrev_i32 v5, 29, v5
	s_delay_alu instid0(VALU_DEP_1) | instskip(NEXT) | instid1(VALU_DEP_1)
	v_add_nc_u32_e32 v5, v5, v8
	v_mul_lo_u32 v5, 0x7fffffff, v5
	s_delay_alu instid0(VALU_DEP_1) | instskip(NEXT) | instid1(VALU_DEP_1)
	v_dual_fma_f32 v13, v7, v12, v11 :: v_dual_sub_nc_u32 v8, v4, v5
	v_fmac_f32_e32 v12, v13, v10
	s_delay_alu instid0(VALU_DEP_2) | instskip(NEXT) | instid1(VALU_DEP_2)
	v_cvt_f32_i32_e32 v4, v8
	v_fmac_f32_e32 v11, v7, v12
	s_delay_alu instid0(VALU_DEP_2) | instskip(NEXT) | instid1(VALU_DEP_2)
	v_mul_f32_e32 v4, 0x30000000, v4
	v_div_fmas_f32 v5, v11, v10, v12
                                        ; implicit-def: $vgpr11
                                        ; implicit-def: $vgpr10
	s_delay_alu instid0(VALU_DEP_2) | instskip(NEXT) | instid1(VALU_DEP_2)
	v_mul_f32_e64 v7, 0x40c90fdb, |v4|
	v_div_fixup_f32 v4, v5, s3, 1.0
	s_mov_b32 s3, exec_lo
	global_store_b32 v2, v4, s[10:11] scale_offset
	s_wait_xcnt 0x0
	v_cmpx_ngt_f32_e32 0x48000000, v7
	s_xor_b32 s19, exec_lo, s3
	s_cbranch_execz .LBB1_3
; %bb.2:
	s_mov_b32 s3, 0x7fffff
	v_mov_b32_e32 v5, 0
	v_and_or_b32 v4, v7, s3, 0x800000
	s_mov_b64 s[24:25], 0xfe5163ab
	s_delay_alu instid0(VALU_DEP_1) | instid1(SALU_CYCLE_1)
	v_mul_u64_e32 v[10:11], s[24:25], v[4:5]
	s_delay_alu instid0(VALU_DEP_1) | instskip(SKIP_2) | instid1(VALU_DEP_3)
	v_dual_mov_b32 v12, v11 :: v_dual_mov_b32 v13, v5
	v_dual_mov_b32 v15, v5 :: v_dual_mov_b32 v17, v5
	v_dual_mov_b32 v19, v5 :: v_dual_lshrrev_b32 v11, 23, v7
	v_mad_nc_u64_u32 v[12:13], 0x3c439041, v4, v[12:13]
	s_delay_alu instid0(VALU_DEP_1) | instskip(NEXT) | instid1(VALU_DEP_1)
	v_mov_b32_e32 v14, v13
	v_mad_nc_u64_u32 v[14:15], 0xdb629599, v4, v[14:15]
	s_delay_alu instid0(VALU_DEP_1) | instskip(NEXT) | instid1(VALU_DEP_1)
	v_mov_b32_e32 v16, v15
	;; [unrolled: 3-line block ×3, first 2 shown]
	v_mad_nc_u64_u32 v[18:19], 0xfc2757d1, v4, v[18:19]
	s_delay_alu instid0(VALU_DEP_1) | instskip(NEXT) | instid1(VALU_DEP_1)
	v_dual_mov_b32 v21, v5 :: v_dual_mov_b32 v20, v19
	v_mad_nc_u64_u32 v[20:21], 0x4e441529, v4, v[20:21]
	s_delay_alu instid0(VALU_DEP_1) | instskip(NEXT) | instid1(VALU_DEP_1)
	v_dual_mov_b32 v22, v21 :: v_dual_add_nc_u32 v11, 0xffffff88, v11
	v_cmp_lt_u32_e32 vcc_lo, 63, v11
	v_mov_b32_e32 v23, v5
	v_cndmask_b32_e64 v13, 0, 0xffffffc0, vcc_lo
	s_delay_alu instid0(VALU_DEP_2) | instskip(SKIP_1) | instid1(VALU_DEP_3)
	v_mad_nc_u64_u32 v[4:5], 0xa2f9836e, v4, v[22:23]
	v_dual_cndmask_b32 v15, v20, v16, vcc_lo :: v_dual_cndmask_b32 v17, v18, v14, vcc_lo
	v_dual_cndmask_b32 v12, v16, v12 :: v_dual_add_nc_u32 v11, v13, v11
	v_cndmask_b32_e32 v10, v14, v10, vcc_lo
	s_delay_alu instid0(VALU_DEP_2) | instskip(SKIP_1) | instid1(VALU_DEP_2)
	v_cmp_lt_u32_e64 s3, 31, v11
	v_dual_cndmask_b32 v4, v4, v18 :: v_dual_cndmask_b32 v5, v5, v20
	v_cndmask_b32_e64 v13, 0, 0xffffffe0, s3
	s_delay_alu instid0(VALU_DEP_4) | instskip(NEXT) | instid1(VALU_DEP_2)
	v_dual_cndmask_b32 v16, v17, v12, s3 :: v_dual_cndmask_b32 v10, v12, v10, s3
	v_add_nc_u32_e32 v11, v13, v11
	s_delay_alu instid0(VALU_DEP_1) | instskip(NEXT) | instid1(VALU_DEP_1)
	v_cmp_lt_u32_e64 s4, 31, v11
	v_cndmask_b32_e64 v13, 0, 0xffffffe0, s4
	s_delay_alu instid0(VALU_DEP_1) | instskip(SKIP_1) | instid1(VALU_DEP_2)
	v_dual_cndmask_b32 v10, v16, v10, s4 :: v_dual_add_nc_u32 v11, v13, v11
	v_dual_cndmask_b32 v13, v4, v15, s3 :: v_dual_cndmask_b32 v4, v5, v4, s3
	v_dual_cndmask_b32 v5, v15, v17, s3 :: v_dual_sub_nc_u32 v15, 32, v11
	v_cmp_eq_u32_e32 vcc_lo, 0, v11
	s_delay_alu instid0(VALU_DEP_3) | instskip(NEXT) | instid1(VALU_DEP_3)
	v_cndmask_b32_e64 v4, v4, v13, s4
	v_cndmask_b32_e64 v13, v13, v5, s4
	;; [unrolled: 1-line block ×3, first 2 shown]
	s_delay_alu instid0(VALU_DEP_2) | instskip(NEXT) | instid1(VALU_DEP_2)
	v_alignbit_b32 v17, v4, v13, v15
	v_alignbit_b32 v14, v13, v5, v15
	;; [unrolled: 1-line block ×3, first 2 shown]
	s_delay_alu instid0(VALU_DEP_2) | instskip(NEXT) | instid1(VALU_DEP_2)
	v_dual_cndmask_b32 v4, v17, v4 :: v_dual_cndmask_b32 v11, v14, v13
	v_cndmask_b32_e32 v5, v15, v5, vcc_lo
	s_delay_alu instid0(VALU_DEP_2) | instskip(NEXT) | instid1(VALU_DEP_3)
	v_bfe_u32 v12, v4, 29, 1
	v_alignbit_b32 v13, v4, v11, 30
	s_delay_alu instid0(VALU_DEP_3) | instskip(SKIP_1) | instid1(VALU_DEP_4)
	v_alignbit_b32 v11, v11, v5, 30
	v_alignbit_b32 v5, v5, v10, 30
	v_sub_nc_u32_e32 v14, 0, v12
	s_delay_alu instid0(VALU_DEP_1) | instskip(NEXT) | instid1(VALU_DEP_4)
	v_xor_b32_e32 v13, v13, v14
	v_xor_b32_e32 v10, v11, v14
	s_delay_alu instid0(VALU_DEP_4) | instskip(SKIP_1) | instid1(VALU_DEP_4)
	v_dual_lshrrev_b32 v14, 29, v4 :: v_dual_bitop2_b32 v5, v5, v14 bitop3:0x14
	v_lshrrev_b32_e32 v4, 30, v4
	v_clz_i32_u32_e32 v15, v13
	s_delay_alu instid0(VALU_DEP_1) | instskip(NEXT) | instid1(VALU_DEP_1)
	v_min_u32_e32 v15, 32, v15
	v_dual_sub_nc_u32 v11, 31, v15 :: v_dual_lshlrev_b32 v16, 23, v15
	s_delay_alu instid0(VALU_DEP_1) | instskip(SKIP_2) | instid1(VALU_DEP_2)
	v_alignbit_b32 v13, v13, v10, v11
	v_alignbit_b32 v5, v10, v5, v11
	v_lshlrev_b32_e32 v10, 31, v14
	v_alignbit_b32 v11, v13, v5, 9
	s_delay_alu instid0(VALU_DEP_2) | instskip(SKIP_1) | instid1(VALU_DEP_3)
	v_dual_lshrrev_b32 v13, 9, v13 :: v_dual_bitop2_b32 v14, 0.5, v10 bitop3:0x54
	v_or_b32_e32 v10, 0x33000000, v10
	v_clz_i32_u32_e32 v17, v11
	s_delay_alu instid0(VALU_DEP_3) | instskip(NEXT) | instid1(VALU_DEP_2)
	v_sub_nc_u32_e32 v14, v14, v16
	v_min_u32_e32 v16, 32, v17
	s_delay_alu instid0(VALU_DEP_1) | instskip(NEXT) | instid1(VALU_DEP_3)
	v_add_lshl_u32 v15, v16, v15, 23
	v_or_b32_e32 v13, v13, v14
	v_not_b32_e32 v14, v16
	s_delay_alu instid0(VALU_DEP_2) | instskip(NEXT) | instid1(VALU_DEP_2)
	v_dual_mul_f32 v17, 0x3fc90fda, v13 :: v_dual_sub_nc_u32 v10, v10, v15
	v_alignbit_b32 v5, v11, v5, v14
	s_delay_alu instid0(VALU_DEP_2) | instskip(NEXT) | instid1(VALU_DEP_2)
	v_fma_f32 v11, 0x3fc90fda, v13, -v17
	v_lshrrev_b32_e32 v5, 9, v5
	s_delay_alu instid0(VALU_DEP_2) | instskip(NEXT) | instid1(VALU_DEP_2)
	v_fmamk_f32 v11, v13, 0x33a22168, v11
	v_or_b32_e32 v5, v10, v5
	s_delay_alu instid0(VALU_DEP_1) | instskip(NEXT) | instid1(VALU_DEP_1)
	v_fmac_f32_e32 v11, 0x3fc90fda, v5
	v_dual_add_f32 v10, v17, v11 :: v_dual_add_nc_u32 v11, v12, v4
.LBB1_3:
	s_or_saveexec_b32 s3, s19
	v_lshl_add_u64 v[4:5], v[2:3], 2, s[16:17]
	s_xor_b32 exec_lo, exec_lo, s3
; %bb.4:
	v_mul_f32_e32 v10, 0x3f22f983, v7
	s_delay_alu instid0(VALU_DEP_1) | instskip(NEXT) | instid1(VALU_DEP_1)
	v_rndne_f32_e32 v11, v10
	v_fmamk_f32 v10, v11, 0xbfc90fda, v7
	s_delay_alu instid0(VALU_DEP_1) | instskip(NEXT) | instid1(VALU_DEP_1)
	v_fmamk_f32 v10, v11, 0xb3a22168, v10
	v_fmamk_f32 v10, v11, 0xa7c234c4, v10
	v_cvt_i32_f32_e32 v11, v11
; %bb.5:
	s_or_b32 exec_lo, exec_lo, s3
	v_cvt_f32_i32_e32 v9, v9
	s_mov_b32 s3, 0x41c64e6d
	s_delay_alu instid0(VALU_DEP_2) | instskip(SKIP_1) | instid1(VALU_DEP_3)
	v_and_b32_e32 v18, 1, v11
	v_mad_u32 v8, v8, s3, 0x3039
	v_mul_f32_e32 v9, 0x30000000, v9
	s_delay_alu instid0(VALU_DEP_1) | instskip(NEXT) | instid1(VALU_DEP_1)
	v_cmp_gt_f32_e64 s4, 0x800000, |v9|
	v_cndmask_b32_e64 v12, 0, 32, s4
	s_delay_alu instid0(VALU_DEP_1) | instskip(SKIP_1) | instid1(VALU_DEP_2)
	v_ldexp_f32 v9, |v9|, v12
	v_mul_hi_i32 v12, 0x40000001, v8
	v_log_f32_e32 v9, v9
	v_nop
	s_delay_alu instid0(TRANS32_DEP_1) | instskip(SKIP_2) | instid1(VALU_DEP_3)
	v_dual_mul_f32 v13, 0x3f317217, v9 :: v_dual_lshrrev_b32 v14, 31, v12
	v_ashrrev_i32_e32 v12, 29, v12
	v_cmp_gt_f32_e64 vcc_lo, 0x7f800000, |v9|
	v_fma_f32 v13, 0x3f317217, v9, -v13
	s_delay_alu instid0(VALU_DEP_3) | instskip(SKIP_2) | instid1(VALU_DEP_3)
	v_add_nc_u32_e32 v12, v12, v14
	v_cndmask_b32_e64 v14, 0, 0x41b17218, s4
	s_mov_b32 s4, 0x37d75334
	v_fmamk_f32 v13, v9, 0x3377d1cf, v13
	s_delay_alu instid0(VALU_DEP_3) | instskip(NEXT) | instid1(VALU_DEP_1)
	v_mul_lo_u32 v12, 0x7fffffff, v12
	v_dual_fmac_f32 v13, 0x3f317217, v9 :: v_dual_sub_nc_u32 v8, v8, v12
	s_delay_alu instid0(VALU_DEP_1) | instskip(NEXT) | instid1(VALU_DEP_2)
	v_cndmask_b32_e32 v9, v9, v13, vcc_lo
	v_mad_u32 v12, v8, s3, 0x3039
	s_mov_b32 s3, 0xb94c1982
	s_delay_alu instid0(VALU_DEP_2) | instskip(NEXT) | instid1(VALU_DEP_1)
	v_sub_f32_e32 v9, v9, v14
	v_mul_f32_e32 v9, -2.0, v9
	s_delay_alu instid0(VALU_DEP_3) | instskip(NEXT) | instid1(VALU_DEP_2)
	v_mul_hi_i32 v14, 0x40000001, v12
	v_mul_f32_e32 v13, 0x4f800000, v9
	v_cmp_gt_f32_e32 vcc_lo, 0xf800000, v9
	s_delay_alu instid0(VALU_DEP_2) | instskip(SKIP_2) | instid1(VALU_DEP_3)
	v_dual_cndmask_b32 v9, v9, v13 :: v_dual_lshrrev_b32 v20, 31, v14
	v_mul_f32_e32 v13, v10, v10
	v_ashrrev_i32_e32 v14, 29, v14
	v_sqrt_f32_e32 v15, v9
	s_delay_alu instid0(VALU_DEP_2) | instskip(NEXT) | instid1(VALU_DEP_2)
	v_fmaak_f32 v16, s3, v13, 0x3c0881c4
	v_dual_fmaak_f32 v17, s4, v13, 0xbab64f3b :: v_dual_add_nc_u32 v14, v14, v20
	s_delay_alu instid0(TRANS32_DEP_1) | instid1(VALU_DEP_2)
	v_dual_fmaak_f32 v16, v13, v16, 0xbe2aaa9d :: v_dual_add_nc_u32 v21, 1, v15
	v_add_nc_u32_e32 v19, -1, v15
	s_delay_alu instid0(VALU_DEP_3) | instskip(NEXT) | instid1(VALU_DEP_4)
	v_fmaak_f32 v17, v13, v17, 0x3d2aabf7
	v_mul_lo_u32 v14, 0x7fffffff, v14
	s_delay_alu instid0(VALU_DEP_4) | instskip(NEXT) | instid1(VALU_DEP_4)
	v_mul_f32_e32 v16, v13, v16
	v_dual_fma_f32 v20, -v21, v15, v9 :: v_dual_fma_f32 v22, -v19, v15, v9
	s_delay_alu instid0(VALU_DEP_4) | instskip(NEXT) | instid1(VALU_DEP_3)
	v_fmaak_f32 v17, v13, v17, 0xbf000004
	v_dual_fmac_f32 v10, v10, v16 :: v_dual_lshlrev_b32 v11, 30, v11
	s_delay_alu instid0(VALU_DEP_3) | instskip(NEXT) | instid1(VALU_DEP_3)
	v_cmp_ge_f32_e64 s3, 0, v22
	v_fma_f32 v13, v13, v17, 1.0
	s_delay_alu instid0(VALU_DEP_2) | instskip(SKIP_1) | instid1(VALU_DEP_1)
	v_dual_sub_nc_u32 v12, v12, v14 :: v_dual_cndmask_b32 v15, v15, v19, s3
	v_cmp_lt_f32_e64 s3, 0, v20
	v_cndmask_b32_e64 v15, v15, v21, s3
	v_cmp_eq_u32_e64 s3, 0, v18
	s_delay_alu instid0(VALU_DEP_1) | instskip(NEXT) | instid1(VALU_DEP_3)
	v_cndmask_b32_e64 v10, -v10, v13, s3
	v_mul_f32_e32 v13, 0x37800000, v15
	s_mov_b32 s3, exec_lo
	s_delay_alu instid0(VALU_DEP_2) | instskip(NEXT) | instid1(VALU_DEP_2)
	v_bitop3_b32 v10, v11, v10, 0x80000000 bitop3:0x6c
	v_cndmask_b32_e32 v11, v15, v13, vcc_lo
	v_cmp_lg_f32_e32 vcc_lo, 0x7f800000, v7
	s_delay_alu instid0(VALU_DEP_3) | instskip(SKIP_2) | instid1(VALU_DEP_2)
	v_cndmask_b32_e32 v7, 0x7fc00000, v10, vcc_lo
	v_cmp_class_f32_e64 vcc_lo, v9, 0x260
	v_cvt_f32_i32_e32 v10, v12
	v_dual_cndmask_b32 v9, v11, v9, vcc_lo :: v_dual_mov_b32 v11, 1.0
	s_delay_alu instid0(VALU_DEP_1) | instskip(NEXT) | instid1(VALU_DEP_3)
	v_mul_f32_e32 v7, v9, v7
	v_mul_f32_e32 v9, 0x30000000, v10
	s_delay_alu instid0(VALU_DEP_2) | instskip(NEXT) | instid1(VALU_DEP_2)
	v_fmamk_f32 v13, v7, 0x40a00000, v11
	v_mul_f32_e64 v7, 0x40c90fdb, |v9|
	v_lshl_add_u64 v[10:11], v[2:3], 2, s[12:13]
	s_wait_loadcnt 0x0
	s_delay_alu instid0(VALU_DEP_3)
	v_add_f32_e32 v6, v6, v13
	global_store_b32 v[10:11], v6, off
	global_store_b32 v[4:5], v12, off
                                        ; implicit-def: $vgpr5
                                        ; implicit-def: $vgpr4
	s_wait_xcnt 0x0
	v_cmpx_ngt_f32_e32 0x48000000, v7
	s_xor_b32 s16, exec_lo, s3
	s_cbranch_execz .LBB1_7
; %bb.6:
	s_mov_b32 s3, 0x7fffff
	v_mov_b32_e32 v5, 0
	v_and_or_b32 v4, v7, s3, 0x800000
	s_mov_b64 s[24:25], 0xfe5163ab
	v_lshrrev_b32_e32 v6, 23, v7
	s_delay_alu instid0(VALU_DEP_2) | instskip(NEXT) | instid1(VALU_DEP_1)
	v_mul_u64_e32 v[10:11], s[24:25], v[4:5]
	v_dual_mov_b32 v12, v11 :: v_dual_mov_b32 v13, v5
	v_dual_mov_b32 v15, v5 :: v_dual_mov_b32 v17, v5
	s_delay_alu instid0(VALU_DEP_4) | instskip(SKIP_1) | instid1(VALU_DEP_4)
	v_dual_mov_b32 v19, v5 :: v_dual_add_nc_u32 v6, 0xffffff88, v6
	v_mov_b32_e32 v23, v5
	v_mad_nc_u64_u32 v[12:13], 0x3c439041, v4, v[12:13]
	s_delay_alu instid0(VALU_DEP_3) | instskip(SKIP_1) | instid1(VALU_DEP_3)
	v_cmp_lt_u32_e32 vcc_lo, 63, v6
	v_cndmask_b32_e64 v9, 0, 0xffffffc0, vcc_lo
	v_mov_b32_e32 v14, v13
	s_delay_alu instid0(VALU_DEP_1) | instskip(NEXT) | instid1(VALU_DEP_1)
	v_mad_nc_u64_u32 v[14:15], 0xdb629599, v4, v[14:15]
	v_dual_mov_b32 v16, v15 :: v_dual_cndmask_b32 v10, v14, v10, vcc_lo
	s_delay_alu instid0(VALU_DEP_1) | instskip(NEXT) | instid1(VALU_DEP_1)
	v_mad_nc_u64_u32 v[16:17], 0xf534ddc0, v4, v[16:17]
	v_mov_b32_e32 v18, v17
	s_delay_alu instid0(VALU_DEP_1) | instskip(NEXT) | instid1(VALU_DEP_1)
	v_mad_nc_u64_u32 v[18:19], 0xfc2757d1, v4, v[18:19]
	v_dual_mov_b32 v21, v5 :: v_dual_mov_b32 v20, v19
	s_delay_alu instid0(VALU_DEP_2) | instskip(NEXT) | instid1(VALU_DEP_2)
	v_cndmask_b32_e32 v13, v18, v14, vcc_lo
	v_mad_nc_u64_u32 v[20:21], 0x4e441529, v4, v[20:21]
	s_delay_alu instid0(VALU_DEP_1) | instskip(NEXT) | instid1(VALU_DEP_1)
	v_dual_cndmask_b32 v11, v20, v16 :: v_dual_add_nc_u32 v6, v9, v6
	v_cmp_lt_u32_e64 s3, 31, v6
	s_delay_alu instid0(VALU_DEP_3) | instskip(NEXT) | instid1(VALU_DEP_2)
	v_mov_b32_e32 v22, v21
	v_cndmask_b32_e64 v9, 0, 0xffffffe0, s3
	s_delay_alu instid0(VALU_DEP_2) | instskip(NEXT) | instid1(VALU_DEP_2)
	v_mad_nc_u64_u32 v[4:5], 0xa2f9836e, v4, v[22:23]
	v_add_nc_u32_e32 v6, v9, v6
	s_delay_alu instid0(VALU_DEP_1) | instskip(NEXT) | instid1(VALU_DEP_3)
	v_cmp_lt_u32_e64 s4, 31, v6
	v_dual_cndmask_b32 v4, v4, v18 :: v_dual_cndmask_b32 v5, v5, v20
	s_delay_alu instid0(VALU_DEP_2) | instskip(NEXT) | instid1(VALU_DEP_1)
	v_cndmask_b32_e64 v9, 0, 0xffffffe0, s4
	v_dual_cndmask_b32 v9, v16, v12 :: v_dual_add_nc_u32 v6, v9, v6
	s_delay_alu instid0(VALU_DEP_3) | instskip(NEXT) | instid1(VALU_DEP_2)
	v_dual_cndmask_b32 v12, v4, v11, s3 :: v_dual_cndmask_b32 v4, v5, v4, s3
	v_dual_cndmask_b32 v5, v11, v13, s3 :: v_dual_sub_nc_u32 v11, 32, v6
	s_delay_alu instid0(VALU_DEP_3) | instskip(SKIP_1) | instid1(VALU_DEP_4)
	v_cndmask_b32_e64 v13, v13, v9, s3
	v_cmp_eq_u32_e32 vcc_lo, 0, v6
	v_cndmask_b32_e64 v4, v4, v12, s4
	s_delay_alu instid0(VALU_DEP_4) | instskip(NEXT) | instid1(VALU_DEP_4)
	v_dual_cndmask_b32 v12, v12, v5, s4 :: v_dual_cndmask_b32 v6, v9, v10, s3
	v_cndmask_b32_e64 v5, v5, v13, s4
	s_delay_alu instid0(VALU_DEP_2) | instskip(NEXT) | instid1(VALU_DEP_3)
	v_alignbit_b32 v15, v4, v12, v11
	v_cndmask_b32_e64 v6, v13, v6, s4
	s_delay_alu instid0(VALU_DEP_3) | instskip(NEXT) | instid1(VALU_DEP_3)
	v_alignbit_b32 v14, v12, v5, v11
	v_cndmask_b32_e32 v4, v15, v4, vcc_lo
	s_delay_alu instid0(VALU_DEP_3) | instskip(NEXT) | instid1(VALU_DEP_3)
	v_alignbit_b32 v11, v5, v6, v11
	v_cndmask_b32_e32 v9, v14, v12, vcc_lo
	s_delay_alu instid0(VALU_DEP_3) | instskip(NEXT) | instid1(VALU_DEP_3)
	v_bfe_u32 v10, v4, 29, 1
	v_cndmask_b32_e32 v5, v11, v5, vcc_lo
	s_delay_alu instid0(VALU_DEP_3) | instskip(NEXT) | instid1(VALU_DEP_3)
	v_alignbit_b32 v12, v4, v9, 30
	v_sub_nc_u32_e32 v13, 0, v10
	s_delay_alu instid0(VALU_DEP_3) | instskip(SKIP_1) | instid1(VALU_DEP_3)
	v_alignbit_b32 v9, v9, v5, 30
	v_alignbit_b32 v5, v5, v6, 30
	v_xor_b32_e32 v12, v12, v13
	s_delay_alu instid0(VALU_DEP_3) | instskip(NEXT) | instid1(VALU_DEP_3)
	v_xor_b32_e32 v6, v9, v13
	v_dual_lshrrev_b32 v13, 29, v4 :: v_dual_bitop2_b32 v5, v5, v13 bitop3:0x14
	s_delay_alu instid0(VALU_DEP_3) | instskip(NEXT) | instid1(VALU_DEP_1)
	v_clz_i32_u32_e32 v11, v12
	v_min_u32_e32 v11, 32, v11
	s_delay_alu instid0(VALU_DEP_1) | instskip(NEXT) | instid1(VALU_DEP_1)
	v_dual_sub_nc_u32 v9, 31, v11 :: v_dual_lshlrev_b32 v14, 23, v11
	v_alignbit_b32 v12, v12, v6, v9
	v_alignbit_b32 v5, v6, v5, v9
	v_lshlrev_b32_e32 v6, 31, v13
	s_delay_alu instid0(VALU_DEP_2) | instskip(NEXT) | instid1(VALU_DEP_2)
	v_alignbit_b32 v9, v12, v5, 9
	v_dual_lshrrev_b32 v12, 9, v12 :: v_dual_bitop2_b32 v13, 0.5, v6 bitop3:0x54
	v_or_b32_e32 v6, 0x33000000, v6
	s_delay_alu instid0(VALU_DEP_3) | instskip(NEXT) | instid1(VALU_DEP_3)
	v_clz_i32_u32_e32 v15, v9
	v_sub_nc_u32_e32 v13, v13, v14
	s_delay_alu instid0(VALU_DEP_2) | instskip(NEXT) | instid1(VALU_DEP_1)
	v_min_u32_e32 v14, 32, v15
	v_add_lshl_u32 v11, v14, v11, 23
	s_delay_alu instid0(VALU_DEP_3) | instskip(SKIP_1) | instid1(VALU_DEP_2)
	v_or_b32_e32 v12, v12, v13
	v_not_b32_e32 v13, v14
	v_dual_mul_f32 v15, 0x3fc90fda, v12 :: v_dual_sub_nc_u32 v6, v6, v11
	s_delay_alu instid0(VALU_DEP_2) | instskip(NEXT) | instid1(VALU_DEP_2)
	v_alignbit_b32 v5, v9, v5, v13
	v_fma_f32 v9, 0x3fc90fda, v12, -v15
	s_delay_alu instid0(VALU_DEP_2) | instskip(NEXT) | instid1(VALU_DEP_2)
	v_lshrrev_b32_e32 v5, 9, v5
	v_fmamk_f32 v9, v12, 0x33a22168, v9
	s_delay_alu instid0(VALU_DEP_2) | instskip(NEXT) | instid1(VALU_DEP_1)
	v_or_b32_e32 v5, v6, v5
	v_fmac_f32_e32 v9, 0x3fc90fda, v5
	s_delay_alu instid0(VALU_DEP_1) | instskip(NEXT) | instid1(VALU_DEP_1)
	v_dual_add_f32 v4, v15, v9 :: v_dual_lshrrev_b32 v5, 30, v4
	v_add_nc_u32_e32 v5, v10, v5
.LBB1_7:
	s_and_not1_saveexec_b32 s3, s16
; %bb.8:
	v_mul_f32_e32 v4, 0x3f22f983, v7
	s_delay_alu instid0(VALU_DEP_1) | instskip(NEXT) | instid1(VALU_DEP_1)
	v_rndne_f32_e32 v5, v4
	v_fmamk_f32 v4, v5, 0xbfc90fda, v7
	s_delay_alu instid0(VALU_DEP_1) | instskip(NEXT) | instid1(VALU_DEP_1)
	v_fmamk_f32 v4, v5, 0xb3a22168, v4
	v_fmamk_f32 v4, v5, 0xa7c234c4, v4
	v_cvt_i32_f32_e32 v5, v5
; %bb.9:
	s_or_b32 exec_lo, exec_lo, s3
	v_cvt_f32_i32_e32 v6, v8
	s_mov_b32 s4, 0x37d75334
	s_delay_alu instid0(VALU_DEP_1) | instskip(NEXT) | instid1(VALU_DEP_1)
	v_mul_f32_e32 v6, 0x30000000, v6
	v_cmp_gt_f32_e64 s3, 0x800000, |v6|
	s_delay_alu instid0(VALU_DEP_1) | instskip(SKIP_2) | instid1(VALU_DEP_2)
	v_cndmask_b32_e64 v8, 0, 32, s3
	v_cndmask_b32_e64 v9, 0, 0x41b17218, s3
	s_mov_b32 s3, 0xb94c1982
	v_ldexp_f32 v6, |v6|, v8
	s_delay_alu instid0(VALU_DEP_1) | instskip(SKIP_1) | instid1(TRANS32_DEP_1)
	v_log_f32_e32 v6, v6
	v_nop
	v_mul_f32_e32 v8, 0x3f317217, v6
	v_cmp_gt_f32_e64 vcc_lo, 0x7f800000, |v6|
	s_delay_alu instid0(VALU_DEP_2) | instskip(NEXT) | instid1(VALU_DEP_1)
	v_fma_f32 v8, 0x3f317217, v6, -v8
	v_fmamk_f32 v8, v6, 0x3377d1cf, v8
	s_delay_alu instid0(VALU_DEP_1) | instskip(NEXT) | instid1(VALU_DEP_1)
	v_fmac_f32_e32 v8, 0x3f317217, v6
	v_cndmask_b32_e32 v6, v6, v8, vcc_lo
	s_delay_alu instid0(VALU_DEP_1) | instskip(NEXT) | instid1(VALU_DEP_1)
	v_dual_sub_f32 v6, v6, v9 :: v_dual_mul_f32 v9, v4, v4
	v_dual_fmaak_f32 v11, s3, v9, 0x3c0881c4 :: v_dual_mul_f32 v6, -2.0, v6
	v_fmaak_f32 v12, s4, v9, 0xbab64f3b
	s_delay_alu instid0(VALU_DEP_2) | instskip(NEXT) | instid1(VALU_DEP_3)
	v_fmaak_f32 v11, v9, v11, 0xbe2aaa9d
	v_mul_f32_e32 v8, 0x4f800000, v6
	v_cmp_gt_f32_e32 vcc_lo, 0xf800000, v6
	s_delay_alu instid0(VALU_DEP_2) | instskip(NEXT) | instid1(VALU_DEP_1)
	v_cndmask_b32_e32 v6, v6, v8, vcc_lo
	v_sqrt_f32_e32 v8, v6
	v_nop
	s_delay_alu instid0(TRANS32_DEP_1) | instskip(NEXT) | instid1(VALU_DEP_1)
	v_dual_add_nc_u32 v10, -1, v8 :: v_dual_add_nc_u32 v13, 1, v8
	v_dual_fma_f32 v14, -v10, v8, v6 :: v_dual_fma_f32 v15, -v13, v8, v6
	s_delay_alu instid0(VALU_DEP_1) | instskip(NEXT) | instid1(VALU_DEP_1)
	v_cmp_ge_f32_e64 s3, 0, v14
	v_dual_cndmask_b32 v8, v8, v10, s3 :: v_dual_mul_f32 v10, v9, v11
	s_delay_alu instid0(VALU_DEP_3) | instskip(NEXT) | instid1(VALU_DEP_2)
	v_cmp_lt_f32_e64 s3, 0, v15
	v_fmac_f32_e32 v4, v4, v10
	s_delay_alu instid0(VALU_DEP_2) | instskip(NEXT) | instid1(VALU_DEP_1)
	v_cndmask_b32_e64 v8, v8, v13, s3
	v_mul_f32_e32 v10, 0x37800000, v8
	s_delay_alu instid0(VALU_DEP_1) | instskip(SKIP_2) | instid1(VALU_DEP_1)
	v_cndmask_b32_e32 v8, v8, v10, vcc_lo
	v_cmp_class_f32_e64 vcc_lo, v6, 0x260
	v_fmaak_f32 v12, v9, v12, 0x3d2aabf7
	v_fmaak_f32 v11, v9, v12, 0xbf000004
	v_dual_lshlrev_b32 v5, 30, v5 :: v_dual_bitop2_b32 v12, 1, v5 bitop3:0x40
	s_delay_alu instid0(VALU_DEP_2) | instskip(NEXT) | instid1(VALU_DEP_2)
	v_fma_f32 v9, v9, v11, 1.0
	v_cmp_eq_u32_e64 s3, 0, v12
	s_delay_alu instid0(VALU_DEP_1) | instskip(NEXT) | instid1(VALU_DEP_1)
	v_cndmask_b32_e64 v4, -v4, v9, s3
	v_bitop3_b32 v4, v5, v4, 0x80000000 bitop3:0x6c
	v_cndmask_b32_e32 v5, v8, v6, vcc_lo
	v_cmp_lg_f32_e32 vcc_lo, 0x7f800000, v7
	s_delay_alu instid0(VALU_DEP_3) | instskip(NEXT) | instid1(VALU_DEP_1)
	v_cndmask_b32_e32 v4, 0x7fc00000, v4, vcc_lo
	v_mul_f32_e32 v4, v5, v4
	s_delay_alu instid0(VALU_DEP_1) | instskip(SKIP_1) | instid1(VALU_DEP_2)
	v_fma_f32 v6, v4, 2.0, -2.0
	v_lshl_add_u64 v[4:5], v[2:3], 2, s[14:15]
	v_add_f32_e32 v1, v1, v6
	global_store_b32 v[4:5], v1, off
.LBB1_10:
	s_wait_xcnt 0x0
	s_or_b32 exec_lo, exec_lo, s18
	s_clause 0x1
	s_load_b128 s[16:19], s[0:1], 0x20
	s_load_b64 s[24:25], s[0:1], 0x30
	v_mov_b32_e32 v4, 0
	s_wait_storecnt 0x0
	s_barrier_signal -1
	s_barrier_wait -1
	s_and_saveexec_b32 s4, s2
	s_cbranch_execz .LBB1_26
; %bb.11:
	s_cmp_gt_i32 s5, 0
	s_wait_xcnt 0x0
	s_mov_b32 s0, 0
	s_cbranch_scc0 .LBB1_13
; %bb.12:
	s_mov_b32 s0, -1
.LBB1_13:
	v_mov_b32_e32 v1, 0
	s_and_not1_b32 vcc_lo, exec_lo, s0
	s_cbranch_vccnz .LBB1_25
; %bb.14:
	s_clause 0x1
	global_load_b32 v1, v2, s[12:13] scale_offset
	global_load_b32 v5, v2, s[14:15] scale_offset
	v_mul_lo_u32 v4, v2, s5
	s_cmp_eq_u32 s5, 1
	s_wait_loadcnt 0x1
	v_cvt_i32_f32_e32 v6, v1
	s_wait_loadcnt 0x0
	v_cvt_i32_f32_e32 v8, v5
	s_cbranch_scc1 .LBB1_19
; %bb.15:
	s_delay_alu instid0(VALU_DEP_1) | instskip(NEXT) | instid1(VALU_DEP_4)
	v_dual_mov_b32 v1, v6 :: v_dual_mov_b32 v5, v8
	v_mov_b32_e32 v10, v4
	s_and_b32 s0, s5, 0x7ffffffe
	s_mov_b32 s1, s6
	s_mov_b32 s12, s6
	;; [unrolled: 1-line block ×12, first 2 shown]
.LBB1_16:                               ; =>This Inner Loop Header: Depth=1
	s_lshl_b32 s34, s30, 1
	s_mov_b32 s35, s3
	s_lshl_b32 s2, s33, 1
	s_lshl_b64 s[34:35], s[34:35], 2
	s_lshl_b64 s[36:37], s[2:3], 2
	s_wait_kmcnt 0x0
	s_add_nc_u64 s[34:35], s[18:19], s[34:35]
	s_add_nc_u64 s[36:37], s[18:19], s[36:37]
	s_clause 0x1
	s_load_b64 s[38:39], s[34:35], 0x0
	s_load_b64 s[40:41], s[36:37], 0x0
	s_add_co_i32 s31, s31, -2
	s_add_co_i32 s33, s33, 2
	s_add_co_i32 s30, s30, 2
	s_cmp_lg_u32 s31, 0
	s_wait_kmcnt 0x0
	v_dual_add_nc_u32 v7, s39, v1 :: v_dual_add_nc_u32 v11, s41, v6
	v_dual_add_nc_u32 v9, s38, v5 :: v_dual_add_nc_u32 v12, s40, v8
	s_delay_alu instid0(VALU_DEP_1) | instskip(NEXT) | instid1(VALU_DEP_2)
	v_mad_u32 v7, v7, s12, v9
	v_mad_u32 v9, v11, s1, v12
	s_delay_alu instid0(VALU_DEP_2) | instskip(NEXT) | instid1(VALU_DEP_2)
	v_mad_u32 v7, v7, s14, s27
	v_mad_u32 v9, v9, s13, s15
	s_delay_alu instid0(VALU_DEP_2) | instskip(NEXT) | instid1(VALU_DEP_1)
	v_dual_ashrrev_i32 v11, 31, v10 :: v_dual_sub_nc_u32 v12, 0, v7
	v_dual_sub_nc_u32 v13, 0, v9 :: v_dual_max_i32 v7, v7, v12
	s_delay_alu instid0(VALU_DEP_1) | instskip(NEXT) | instid1(VALU_DEP_2)
	v_cmp_gt_i32_e32 vcc_lo, s29, v7
	v_max_i32_e32 v9, v9, v13
	s_delay_alu instid0(VALU_DEP_4) | instskip(SKIP_1) | instid1(VALU_DEP_3)
	v_lshl_add_u64 v[12:13], v[10:11], 2, s[16:17]
	v_dual_cndmask_b32 v15, 0, v7 :: v_dual_add_nc_u32 v10, 2, v10
	v_cmp_gt_i32_e32 vcc_lo, s28, v9
	v_cndmask_b32_e32 v14, 0, v9, vcc_lo
	global_store_b64 v[12:13], v[14:15], off
	s_cbranch_scc1 .LBB1_16
; %bb.17:
	s_cmp_lg_u32 s5, s0
	s_cbranch_scc1 .LBB1_20
; %bb.18:
	v_ashrrev_i32_e32 v5, 31, v4
	s_branch .LBB1_23
.LBB1_19:
	s_mov_b32 s0, 0
	s_cbranch_execnz .LBB1_21
	s_branch .LBB1_23
.LBB1_20:
	s_cbranch_execz .LBB1_23
.LBB1_21:
	s_delay_alu instid0(VALU_DEP_3) | instskip(SKIP_3) | instid1(VALU_DEP_1)
	v_ashrrev_i32_e32 v5, 31, v4
	s_mov_b32 s1, 0
	s_sub_co_i32 s2, s5, s0
	s_lshl_b64 s[12:13], s[0:1], 3
	v_add_nc_u64_e32 v[10:11], s[0:1], v[4:5]
	s_wait_kmcnt 0x0
	s_add_nc_u64 s[0:1], s[18:19], s[12:13]
	s_delay_alu instid0(VALU_DEP_1)
	v_lshl_add_u64 v[10:11], v[10:11], 2, s[16:17]
.LBB1_22:                               ; =>This Inner Loop Header: Depth=1
	s_load_b64 s[12:13], s[0:1], 0x0
	s_add_co_i32 s2, s2, -1
	s_wait_xcnt 0x0
	s_add_nc_u64 s[0:1], s[0:1], 8
	s_cmp_eq_u32 s2, 0
	s_wait_kmcnt 0x0
	v_dual_add_nc_u32 v1, s12, v8 :: v_dual_add_nc_u32 v7, s13, v6
	s_delay_alu instid0(VALU_DEP_1) | instskip(NEXT) | instid1(VALU_DEP_1)
	v_mad_u32 v1, v7, s6, v1
	v_mad_u32 v1, v1, s7, s22
	s_delay_alu instid0(VALU_DEP_1) | instskip(NEXT) | instid1(VALU_DEP_1)
	v_sub_nc_u32_e32 v7, 0, v1
	v_max_i32_e32 v1, v1, v7
	s_delay_alu instid0(VALU_DEP_1)
	v_cmp_gt_i32_e32 vcc_lo, s23, v1
	v_cndmask_b32_e32 v1, 0, v1, vcc_lo
	global_store_b32 v[10:11], v1, off
	s_wait_xcnt 0x0
	v_add_nc_u64_e32 v[10:11], 4, v[10:11]
	s_cbranch_scc0 .LBB1_22
.LBB1_23:
	s_wait_kmcnt 0x0
	s_delay_alu instid0(VALU_DEP_1)
	v_lshl_add_u64 v[4:5], v[4:5], 2, s[16:17]
	v_mov_b32_e32 v1, 0
	s_mov_b32 s0, s5
.LBB1_24:                               ; =>This Inner Loop Header: Depth=1
	global_load_b32 v6, v[4:5], off
	s_wait_xcnt 0x0
	v_add_nc_u64_e32 v[4:5], 4, v[4:5]
	s_add_co_i32 s0, s0, -1
	s_delay_alu instid0(SALU_CYCLE_1) | instskip(SKIP_4) | instid1(VALU_DEP_1)
	s_cmp_eq_u32 s0, 0
	s_wait_loadcnt 0x0
	global_load_u8 v6, v6, s[8:9]
	s_wait_loadcnt 0x0
	v_lshl_add_u32 v6, v6, 8, 0xffff5c00
	v_cvt_f32_i32_e32 v6, v6
	s_delay_alu instid0(VALU_DEP_1) | instskip(SKIP_1) | instid1(VALU_DEP_2)
	v_div_scale_f32 v7, null, 0x42480000, 0x42480000, v6
	v_div_scale_f32 v10, vcc_lo, v6, 0x42480000, v6
	v_rcp_f32_e32 v8, v7
	v_nop
	s_delay_alu instid0(TRANS32_DEP_1) | instskip(NEXT) | instid1(VALU_DEP_1)
	v_fma_f32 v9, -v7, v8, 1.0
	v_fmac_f32_e32 v8, v9, v8
	s_delay_alu instid0(VALU_DEP_1) | instskip(NEXT) | instid1(VALU_DEP_1)
	v_mul_f32_e32 v9, v10, v8
	v_fma_f32 v11, -v7, v9, v10
	s_delay_alu instid0(VALU_DEP_1) | instskip(NEXT) | instid1(VALU_DEP_1)
	v_fmac_f32_e32 v9, v11, v8
	v_fma_f32 v7, -v7, v9, v10
	s_delay_alu instid0(VALU_DEP_1) | instskip(NEXT) | instid1(VALU_DEP_1)
	v_div_fmas_f32 v7, v7, v8, v9
	v_div_fixup_f32 v6, v7, 0x42480000, v6
	s_delay_alu instid0(VALU_DEP_1)
	v_add_f32_e32 v1, v1, v6
	s_cbranch_scc0 .LBB1_24
.LBB1_25:
	v_lshlrev_b64_e32 v[2:3], 2, v[2:3]
	s_cvt_f32_i32 s0, s5
	s_delay_alu instid0(VALU_DEP_2) | instid1(SALU_CYCLE_3)
	v_div_scale_f32 v5, null, s0, s0, v1
	s_delay_alu instid0(VALU_DEP_2) | instskip(SKIP_2) | instid1(VALU_DEP_3)
	v_add_nc_u64_e32 v[6:7], s[10:11], v[2:3]
	s_wait_kmcnt 0x0
	v_add_nc_u64_e32 v[2:3], s[24:25], v[2:3]
	v_rcp_f32_e32 v8, v5
	global_load_b32 v4, v[6:7], off
	v_nop
	v_fma_f32 v9, -v5, v8, 1.0
	s_delay_alu instid0(VALU_DEP_1) | instskip(SKIP_1) | instid1(VALU_DEP_1)
	v_fmac_f32_e32 v8, v9, v8
	v_div_scale_f32 v9, vcc_lo, v1, s0, v1
	v_mul_f32_e32 v10, v9, v8
	s_delay_alu instid0(VALU_DEP_1) | instskip(NEXT) | instid1(VALU_DEP_1)
	v_fma_f32 v11, -v5, v10, v9
	v_fmac_f32_e32 v10, v11, v8
	s_delay_alu instid0(VALU_DEP_1) | instskip(NEXT) | instid1(VALU_DEP_1)
	v_fma_f32 v5, -v5, v10, v9
	v_div_fmas_f32 v5, v5, v8, v10
	s_delay_alu instid0(VALU_DEP_1) | instskip(NEXT) | instid1(VALU_DEP_1)
	v_div_fixup_f32 v1, v5, s0, v1
	v_add_f32_e32 v1, 0xc3960000, v1
	s_delay_alu instid0(VALU_DEP_1) | instskip(SKIP_1) | instid1(VALU_DEP_2)
	v_mul_f32_e32 v5, 0x3fb8aa3b, v1
	v_cmp_ngt_f32_e32 vcc_lo, 0xc2ce8ed0, v1
	v_fma_f32 v8, 0x3fb8aa3b, v1, -v5
	v_rndne_f32_e32 v9, v5
	s_delay_alu instid0(VALU_DEP_2) | instskip(NEXT) | instid1(VALU_DEP_2)
	v_fmamk_f32 v8, v1, 0x32a5705f, v8
	v_sub_f32_e32 v5, v5, v9
	s_delay_alu instid0(VALU_DEP_1) | instskip(SKIP_1) | instid1(VALU_DEP_2)
	v_add_f32_e32 v5, v5, v8
	v_cvt_i32_f32_e32 v8, v9
	v_exp_f32_e32 v5, v5
	v_nop
	s_delay_alu instid0(TRANS32_DEP_1) | instskip(NEXT) | instid1(VALU_DEP_1)
	v_ldexp_f32 v5, v5, v8
	v_cndmask_b32_e32 v5, 0, v5, vcc_lo
	v_cmp_nlt_f32_e32 vcc_lo, 0x42b17218, v1
	s_delay_alu instid0(VALU_DEP_2) | instskip(SKIP_1) | instid1(VALU_DEP_1)
	v_cndmask_b32_e32 v5, 0x7f800000, v5, vcc_lo
	s_wait_loadcnt 0x0
	v_mul_f32_e32 v4, v5, v4
	global_store_b32 v[2:3], v1, off
	global_store_b32 v[6:7], v4, off
.LBB1_26:
	s_wait_xcnt 0x0
	s_or_b32 exec_lo, exec_lo, s4
	v_lshlrev_b32_e32 v1, 2, v0
	s_mov_b32 s0, exec_lo
	ds_store_b32 v1, v4
	s_wait_storecnt_dscnt 0x0
	s_barrier_signal -1
	s_barrier_wait -1
	v_cmpx_gt_u32_e32 0x80, v0
	s_cbranch_execz .LBB1_28
; %bb.27:
	ds_load_2addr_stride64_b32 v[2:3], v1 offset1:2
	s_wait_dscnt 0x0
	v_add_f32_e32 v2, v3, v2
	ds_store_b32 v1, v2
.LBB1_28:
	s_or_b32 exec_lo, exec_lo, s0
	s_delay_alu instid0(SALU_CYCLE_1)
	s_mov_b32 s0, exec_lo
	s_wait_dscnt 0x0
	s_barrier_signal -1
	s_barrier_wait -1
	v_cmpx_gt_u32_e32 64, v0
	s_cbranch_execz .LBB1_30
; %bb.29:
	ds_load_2addr_stride64_b32 v[2:3], v1 offset1:1
	s_wait_dscnt 0x0
	v_add_f32_e32 v2, v3, v2
	ds_store_b32 v1, v2
.LBB1_30:
	s_or_b32 exec_lo, exec_lo, s0
	s_delay_alu instid0(SALU_CYCLE_1)
	s_mov_b32 s0, exec_lo
	s_wait_dscnt 0x0
	s_barrier_signal -1
	s_barrier_wait -1
	v_cmpx_gt_u32_e32 32, v0
	s_cbranch_execz .LBB1_32
; %bb.31:
	ds_load_2addr_b32 v[2:3], v1 offset1:32
	s_wait_dscnt 0x0
	v_add_f32_e32 v2, v3, v2
	ds_store_b32 v1, v2
.LBB1_32:
	s_or_b32 exec_lo, exec_lo, s0
	s_delay_alu instid0(SALU_CYCLE_1)
	s_mov_b32 s0, exec_lo
	s_wait_dscnt 0x0
	s_barrier_signal -1
	s_barrier_wait -1
	v_cmpx_gt_u32_e32 16, v0
	s_cbranch_execz .LBB1_34
; %bb.33:
	ds_load_2addr_b32 v[2:3], v1 offset1:16
	s_wait_dscnt 0x0
	v_add_f32_e32 v2, v3, v2
	ds_store_b32 v1, v2
.LBB1_34:
	;; [unrolled: 14-line block ×5, first 2 shown]
	s_or_b32 exec_lo, exec_lo, s0
	v_cmp_eq_u32_e32 vcc_lo, 0, v0
	s_wait_dscnt 0x0
	s_barrier_signal -1
	s_barrier_wait -1
	s_and_saveexec_b32 s0, vcc_lo
	s_cbranch_execz .LBB1_42
; %bb.41:
	ds_load_2addr_b32 v[2:3], v1 offset1:1
	s_wait_dscnt 0x0
	v_add_f32_e32 v0, v3, v2
	ds_store_b32 v1, v0
.LBB1_42:
	s_or_b32 exec_lo, exec_lo, s0
	s_wait_dscnt 0x0
	s_barrier_signal -1
	s_barrier_wait -1
	s_and_saveexec_b32 s0, vcc_lo
	s_cbranch_execz .LBB1_44
; %bb.43:
	v_dual_mov_b32 v0, 0 :: v_dual_mov_b32 v1, s26
	ds_load_b32 v0, v0
	s_wait_dscnt 0x0
	global_store_b32 v1, v0, s[20:21] scale_offset
.LBB1_44:
	s_endpgm
	.section	.rodata,"a",@progbits
	.p2align	6, 0x0
	.amdhsa_kernel _Z17kernel_likelihoodPfS_PKfS1_PiPKiS_PKhS_S2_S_iiiiii
		.amdhsa_group_segment_fixed_size 1024
		.amdhsa_private_segment_fixed_size 0
		.amdhsa_kernarg_size 368
		.amdhsa_user_sgpr_count 2
		.amdhsa_user_sgpr_dispatch_ptr 0
		.amdhsa_user_sgpr_queue_ptr 0
		.amdhsa_user_sgpr_kernarg_segment_ptr 1
		.amdhsa_user_sgpr_dispatch_id 0
		.amdhsa_user_sgpr_kernarg_preload_length 0
		.amdhsa_user_sgpr_kernarg_preload_offset 0
		.amdhsa_user_sgpr_private_segment_size 0
		.amdhsa_wavefront_size32 1
		.amdhsa_uses_dynamic_stack 0
		.amdhsa_enable_private_segment 0
		.amdhsa_system_sgpr_workgroup_id_x 1
		.amdhsa_system_sgpr_workgroup_id_y 0
		.amdhsa_system_sgpr_workgroup_id_z 0
		.amdhsa_system_sgpr_workgroup_info 0
		.amdhsa_system_vgpr_workitem_id 0
		.amdhsa_next_free_vgpr 24
		.amdhsa_next_free_sgpr 42
		.amdhsa_named_barrier_count 0
		.amdhsa_reserve_vcc 1
		.amdhsa_float_round_mode_32 0
		.amdhsa_float_round_mode_16_64 0
		.amdhsa_float_denorm_mode_32 3
		.amdhsa_float_denorm_mode_16_64 3
		.amdhsa_fp16_overflow 0
		.amdhsa_memory_ordered 1
		.amdhsa_forward_progress 1
		.amdhsa_inst_pref_size 38
		.amdhsa_round_robin_scheduling 0
		.amdhsa_exception_fp_ieee_invalid_op 0
		.amdhsa_exception_fp_denorm_src 0
		.amdhsa_exception_fp_ieee_div_zero 0
		.amdhsa_exception_fp_ieee_overflow 0
		.amdhsa_exception_fp_ieee_underflow 0
		.amdhsa_exception_fp_ieee_inexact 0
		.amdhsa_exception_int_div_zero 0
	.end_amdhsa_kernel
	.text
.Lfunc_end1:
	.size	_Z17kernel_likelihoodPfS_PKfS1_PiPKiS_PKhS_S2_S_iiiiii, .Lfunc_end1-_Z17kernel_likelihoodPfS_PKfS1_PiPKiS_PKhS_S2_S_iiiiii
                                        ; -- End function
	.set _Z17kernel_likelihoodPfS_PKfS1_PiPKiS_PKhS_S2_S_iiiiii.num_vgpr, 24
	.set _Z17kernel_likelihoodPfS_PKfS1_PiPKiS_PKhS_S2_S_iiiiii.num_agpr, 0
	.set _Z17kernel_likelihoodPfS_PKfS1_PiPKiS_PKhS_S2_S_iiiiii.numbered_sgpr, 42
	.set _Z17kernel_likelihoodPfS_PKfS1_PiPKiS_PKhS_S2_S_iiiiii.num_named_barrier, 0
	.set _Z17kernel_likelihoodPfS_PKfS1_PiPKiS_PKhS_S2_S_iiiiii.private_seg_size, 0
	.set _Z17kernel_likelihoodPfS_PKfS1_PiPKiS_PKhS_S2_S_iiiiii.uses_vcc, 1
	.set _Z17kernel_likelihoodPfS_PKfS1_PiPKiS_PKhS_S2_S_iiiiii.uses_flat_scratch, 0
	.set _Z17kernel_likelihoodPfS_PKfS1_PiPKiS_PKhS_S2_S_iiiiii.has_dyn_sized_stack, 0
	.set _Z17kernel_likelihoodPfS_PKfS1_PiPKiS_PKhS_S2_S_iiiiii.has_recursion, 0
	.set _Z17kernel_likelihoodPfS_PKfS1_PiPKiS_PKhS_S2_S_iiiiii.has_indirect_call, 0
	.section	.AMDGPU.csdata,"",@progbits
; Kernel info:
; codeLenInByte = 4844
; TotalNumSgprs: 44
; NumVgprs: 24
; ScratchSize: 0
; MemoryBound: 0
; FloatMode: 240
; IeeeMode: 1
; LDSByteSize: 1024 bytes/workgroup (compile time only)
; SGPRBlocks: 0
; VGPRBlocks: 1
; NumSGPRsForWavesPerEU: 44
; NumVGPRsForWavesPerEU: 24
; NamedBarCnt: 0
; Occupancy: 16
; WaveLimiterHint : 1
; COMPUTE_PGM_RSRC2:SCRATCH_EN: 0
; COMPUTE_PGM_RSRC2:USER_SGPR: 2
; COMPUTE_PGM_RSRC2:TRAP_HANDLER: 0
; COMPUTE_PGM_RSRC2:TGID_X_EN: 1
; COMPUTE_PGM_RSRC2:TGID_Y_EN: 0
; COMPUTE_PGM_RSRC2:TGID_Z_EN: 0
; COMPUTE_PGM_RSRC2:TIDIG_COMP_CNT: 0
	.text
	.protected	_Z24kernel_normalize_weightsPfPKfS_S_Pii ; -- Begin function _Z24kernel_normalize_weightsPfPKfS_S_Pii
	.globl	_Z24kernel_normalize_weightsPfPKfS_S_Pii
	.p2align	8
	.type	_Z24kernel_normalize_weightsPfPKfS_S_Pii,@function
_Z24kernel_normalize_weightsPfPKfS_S_Pii: ; @_Z24kernel_normalize_weightsPfPKfS_S_Pii
; %bb.0:
	s_clause 0x1
	s_load_b64 s[6:7], s[0:1], 0x0
	s_load_b32 s3, s[0:1], 0x3c
	v_cmp_eq_u32_e64 s2, 0, v0
	s_and_saveexec_b32 s4, s2
	s_cbranch_execz .LBB2_2
; %bb.1:
	s_load_b64 s[8:9], s[0:1], 0x8
	s_wait_kmcnt 0x0
	s_load_b32 s5, s[8:9], 0x0
	s_wait_kmcnt 0x0
	v_dual_mov_b32 v1, 0 :: v_dual_mov_b32 v2, s5
	ds_store_b32 v1, v2
.LBB2_2:
	s_or_b32 exec_lo, exec_lo, s4
	s_bfe_u32 s8, ttmp6, 0x4000c
	s_clause 0x1
	s_load_b64 s[4:5], s[0:1], 0x18
	s_load_b32 s12, s[0:1], 0x28
	s_add_co_i32 s8, s8, 1
	s_and_b32 s9, ttmp6, 15
	s_mul_i32 s8, ttmp9, s8
	s_getreg_b32 s10, hwreg(HW_REG_IB_STS2, 6, 4)
	s_wait_kmcnt 0x0
	s_and_b32 s3, 0xffff, s3
	s_add_co_i32 s9, s9, s8
	s_cmp_eq_u32 s10, 0
	s_wait_dscnt 0x0
	s_cselect_b32 s8, ttmp9, s9
	s_barrier_signal -1
	v_mad_u32 v0, s8, s3, v0
	s_barrier_wait -1
	s_delay_alu instid0(VALU_DEP_1)
	v_cmp_gt_i32_e64 s3, s12, v0
	s_and_saveexec_b32 s8, s3
	s_cbranch_execz .LBB2_4
; %bb.3:
	global_load_b32 v1, v0, s[6:7] scale_offset
	v_mov_b32_e32 v2, 0
	ds_load_b32 v2, v2
	s_wait_loadcnt_dscnt 0x0
	v_div_scale_f32 v3, null, v2, v2, v1
	s_delay_alu instid0(VALU_DEP_1) | instskip(SKIP_1) | instid1(TRANS32_DEP_1)
	v_rcp_f32_e32 v4, v3
	v_nop
	v_fma_f32 v5, -v3, v4, 1.0
	s_delay_alu instid0(VALU_DEP_1) | instskip(SKIP_1) | instid1(VALU_DEP_1)
	v_fmac_f32_e32 v4, v5, v4
	v_div_scale_f32 v5, vcc_lo, v1, v2, v1
	v_mul_f32_e32 v6, v5, v4
	s_delay_alu instid0(VALU_DEP_1) | instskip(NEXT) | instid1(VALU_DEP_1)
	v_fma_f32 v7, -v3, v6, v5
	v_fmac_f32_e32 v6, v7, v4
	s_delay_alu instid0(VALU_DEP_1) | instskip(NEXT) | instid1(VALU_DEP_1)
	v_fma_f32 v3, -v3, v6, v5
	v_div_fmas_f32 v3, v3, v4, v6
	s_delay_alu instid0(VALU_DEP_1)
	v_div_fixup_f32 v1, v3, v2, v1
	global_store_b32 v0, v1, s[6:7] scale_offset
.LBB2_4:
	s_wait_xcnt 0x0
	s_or_b32 exec_lo, exec_lo, s8
	s_delay_alu instid0(SALU_CYCLE_1)
	s_mov_b32 s13, exec_lo
	s_wait_storecnt 0x0
	s_barrier_signal -1
	s_barrier_wait -1
	v_cmpx_eq_u32_e32 0, v0
	s_cbranch_execz .LBB2_13
; %bb.5:
	v_mov_b32_e32 v1, 0
	s_cmp_lt_i32 s12, 2
	global_load_b32 v2, v1, s[6:7]
	s_clause 0x1
	s_load_b64 s[10:11], s[0:1], 0x10
	s_load_b64 s[8:9], s[0:1], 0x20
	s_wait_loadcnt 0x0
	s_wait_kmcnt 0x0
	global_store_b32 v1, v2, s[10:11]
	s_cbranch_scc1 .LBB2_8
; %bb.6:
	s_add_co_i32 s14, s12, -1
	s_add_nc_u64 s[0:1], s[10:11], 4
	s_add_nc_u64 s[6:7], s[6:7], 4
.LBB2_7:                                ; =>This Inner Loop Header: Depth=1
	global_load_b32 v3, v1, s[6:7]
	s_add_co_i32 s14, s14, -1
	s_wait_xcnt 0x0
	s_add_nc_u64 s[6:7], s[6:7], 4
	s_cmp_eq_u32 s14, 0
	s_wait_loadcnt 0x0
	v_add_f32_e32 v2, v3, v2
	global_store_b32 v1, v2, s[0:1]
	s_wait_xcnt 0x0
	s_add_nc_u64 s[0:1], s[0:1], 4
	s_cbranch_scc0 .LBB2_7
.LBB2_8:
	s_load_b32 s0, s[8:9], 0x0
	s_wait_kmcnt 0x0
	s_mul_i32 s0, s0, 0x41c64e6d
	s_delay_alu instid0(SALU_CYCLE_1) | instskip(NEXT) | instid1(SALU_CYCLE_1)
	s_addk_co_i32 s0, 0x3039
	s_mul_hi_i32 s1, s0, 0x40000001
	s_delay_alu instid0(SALU_CYCLE_1) | instskip(SKIP_1) | instid1(SALU_CYCLE_1)
	s_lshr_b32 s6, s1, 31
	s_ashr_i32 s1, s1, 29
	s_add_co_i32 s1, s1, s6
	s_delay_alu instid0(SALU_CYCLE_1) | instskip(NEXT) | instid1(SALU_CYCLE_1)
	s_mul_i32 s1, s1, 0x7fffffff
	s_sub_co_i32 s7, s0, s1
	s_delay_alu instid0(SALU_CYCLE_1) | instskip(NEXT) | instid1(SALU_CYCLE_1)
	s_mul_i32 s0, s7, 0x41c64e6d
	s_addk_co_i32 s0, 0x3039
	s_delay_alu instid0(SALU_CYCLE_1) | instskip(NEXT) | instid1(SALU_CYCLE_1)
	s_mul_hi_i32 s1, s0, 0x40000001
	s_lshr_b32 s6, s1, 31
	s_ashr_i32 s1, s1, 29
	s_delay_alu instid0(SALU_CYCLE_1) | instskip(NEXT) | instid1(SALU_CYCLE_1)
	s_add_co_i32 s1, s1, s6
	s_mul_i32 s1, s1, 0x7fffffff
	s_delay_alu instid0(SALU_CYCLE_1) | instskip(NEXT) | instid1(SALU_CYCLE_1)
	s_sub_co_i32 s0, s0, s1
	s_cvt_f32_i32 s1, s0
	v_mov_b32_e32 v2, s0
	s_delay_alu instid0(SALU_CYCLE_2) | instskip(SKIP_2) | instid1(SALU_CYCLE_1)
	s_mul_f32 s1, s1, 0x30000000
	global_store_b32 v1, v2, s[8:9]
	s_bitset0_b32 s1, 31
	s_mul_f32 s6, s1, 0x40c90fdb
	s_delay_alu instid0(SALU_CYCLE_3)
	s_cmp_nlt_f32 s6, 0x48000000
	s_cbranch_scc0 .LBB2_10
; %bb.9:
	s_and_b32 s0, s6, 0x7fffff
	s_mov_b32 s1, 0
	s_bitset1_b32 s0, 23
	s_wait_xcnt 0x0
	s_mov_b64 s[8:9], 0xfe5163ab
	s_mov_b32 s11, s1
	s_mul_u64 s[8:9], s[0:1], s[8:9]
	s_mul_u64 s[14:15], s[0:1], 0x3c439041
	s_mov_b32 s10, s9
	s_mov_b64 s[16:17], 0xdb629599
	s_add_nc_u64 s[10:11], s[10:11], s[14:15]
	s_mov_b32 s15, s1
	s_mov_b32 s14, s11
	s_mul_u64 s[16:17], s[0:1], s[16:17]
	s_mov_b64 s[18:19], 0xf534ddc0
	s_add_nc_u64 s[14:15], s[14:15], s[16:17]
	s_mov_b32 s17, s1
	s_mov_b32 s16, s15
	s_mul_u64 s[18:19], s[0:1], s[18:19]
	;; [unrolled: 5-line block ×3, first 2 shown]
	s_lshr_b32 s9, s6, 23
	s_add_nc_u64 s[18:19], s[18:19], s[20:21]
	s_mov_b32 s21, s1
	s_mov_b32 s20, s19
	s_mul_u64 s[22:23], s[0:1], 0x4e441529
	s_add_co_i32 s11, s9, 0xffffff88
	s_add_nc_u64 s[20:21], s[20:21], s[22:23]
	s_mov_b64 s[24:25], 0xa2f9836e
	s_cmp_gt_u32 s11, 63
	s_mov_b32 s22, s21
	s_mov_b32 s23, s1
	s_mul_u64 s[24:25], s[0:1], s[24:25]
	s_cselect_b32 s0, s14, s18
	s_cselect_b32 s14, s8, s14
	s_add_nc_u64 s[8:9], s[22:23], s[24:25]
	s_cselect_b32 s15, 0xffffffc0, 0
	s_cselect_b32 s10, s10, s16
	;; [unrolled: 1-line block ×5, first 2 shown]
	s_add_co_i32 s15, s15, s11
	s_delay_alu instid0(SALU_CYCLE_1)
	s_cmp_gt_u32 s15, 31
	s_cselect_b32 s11, 0xffffffe0, 0
	s_cselect_b32 s17, s16, s8
	;; [unrolled: 1-line block ×6, first 2 shown]
	s_add_co_i32 s11, s11, s15
	s_delay_alu instid0(SALU_CYCLE_1)
	s_cmp_gt_u32 s11, 31
	s_cselect_b32 s14, 0xffffffe0, 0
	s_cselect_b32 s8, s17, s8
	;; [unrolled: 1-line block ×5, first 2 shown]
	s_add_co_i32 s14, s14, s11
	s_delay_alu instid0(SALU_CYCLE_1) | instskip(SKIP_3) | instid1(VALU_DEP_1)
	s_sub_co_i32 s10, 32, s14
	s_cmp_eq_u32 s14, 0
	v_mov_b32_e32 v1, s10
	s_cselect_b32 s11, -1, 0
	v_alignbit_b32 v2, s8, s15, v1
	v_alignbit_b32 v3, s15, s9, v1
	;; [unrolled: 1-line block ×3, first 2 shown]
	s_delay_alu instid0(VALU_DEP_3) | instskip(NEXT) | instid1(VALU_DEP_3)
	v_readfirstlane_b32 s10, v2
	v_cndmask_b32_e64 v2, v3, s15, s11
	s_delay_alu instid0(VALU_DEP_3)
	v_cndmask_b32_e64 v1, v1, s9, s11
	s_cselect_b32 s10, s8, s10
	s_delay_alu instid0(VALU_DEP_2) | instid1(SALU_CYCLE_1)
	v_alignbit_b32 v3, s10, v2, 30
	s_bfe_u32 s9, s10, 0x1001d
	s_delay_alu instid0(VALU_DEP_2) | instskip(SKIP_3) | instid1(VALU_DEP_3)
	v_alignbit_b32 v2, v2, v1, 30
	s_sub_co_i32 s11, 0, s9
	v_alignbit_b32 v1, v1, s0, 30
	v_readfirstlane_b32 s8, v3
	v_xor_b32_e32 v2, s11, v2
	s_delay_alu instid0(VALU_DEP_3) | instskip(SKIP_1) | instid1(SALU_CYCLE_1)
	v_xor_b32_e32 v1, s11, v1
	s_xor_b32 s8, s8, s11
	s_clz_i32_u32 s0, s8
	s_delay_alu instid0(SALU_CYCLE_1) | instskip(NEXT) | instid1(SALU_CYCLE_1)
	s_min_u32 s0, s0, 32
	s_sub_co_i32 s11, 31, s0
	s_lshl_b32 s16, s0, 23
	v_alignbit_b32 v3, s8, v2, s11
	v_alignbit_b32 v1, v2, v1, s11
	s_lshr_b32 s8, s10, 29
	s_delay_alu instid0(SALU_CYCLE_1) | instskip(NEXT) | instid1(VALU_DEP_2)
	s_lshl_b32 s8, s8, 31
	v_readfirstlane_b32 s14, v3
	s_delay_alu instid0(VALU_DEP_2)
	v_alignbit_b32 v2, v3, v1, 9
	s_or_b32 s15, s8, 0.5
	s_or_b32 s8, s8, 0x33000000
	s_sub_co_i32 s15, s15, s16
	s_lshr_b32 s14, s14, 9
	v_readfirstlane_b32 s11, v2
	s_or_b32 s14, s14, s15
	s_delay_alu instid0(SALU_CYCLE_1) | instskip(SKIP_1) | instid1(SALU_CYCLE_1)
	s_mul_f32 s16, s14, 0x3fc90fda
	s_clz_i32_u32 s11, s11
	s_min_u32 s11, s11, 32
	s_delay_alu instid0(SALU_CYCLE_1)
	s_not_b32 s15, s11
	s_add_co_i32 s11, s11, s0
	v_alignbit_b32 v1, v2, v1, s15
	s_xor_b32 s15, s16, 0x80000000
	s_lshl_b32 s11, s11, 23
	s_fmamk_f32 s15, s14, 0x3fc90fda, s15
	s_sub_co_i32 s8, s8, s11
	v_readfirstlane_b32 s0, v1
	s_delay_alu instid0(SALU_CYCLE_1) | instskip(SKIP_1) | instid1(SALU_CYCLE_1)
	s_fmamk_f32 s11, s14, 0x33a22168, s15
	s_lshr_b32 s0, s0, 9
	s_or_b32 s0, s8, s0
	s_delay_alu instid0(SALU_CYCLE_1) | instskip(NEXT) | instid1(SALU_CYCLE_3)
	s_fmamk_f32 s0, s0, 0x3fc90fda, s11
	s_add_f32 s8, s16, s0
	s_lshr_b32 s0, s10, 30
	s_delay_alu instid0(SALU_CYCLE_1)
	s_add_co_i32 s0, s9, s0
	s_cbranch_execz .LBB2_11
	s_branch .LBB2_12
.LBB2_10:
                                        ; implicit-def: $sgpr0
                                        ; implicit-def: $sgpr8
.LBB2_11:
	s_mul_f32 s0, s6, 0x3f22f983
	s_delay_alu instid0(SALU_CYCLE_3) | instskip(NEXT) | instid1(SALU_CYCLE_3)
	s_rndne_f32 s0, s0
	s_fmamk_f32 s1, s0, 0xbfc90fda, s6
	s_delay_alu instid0(SALU_CYCLE_3) | instskip(SKIP_1) | instid1(SALU_CYCLE_2)
	s_fmamk_f32 s1, s0, 0xb3a22168, s1
	s_wait_xcnt 0x0
	s_fmamk_f32 s8, s0, 0xa7c234c4, s1
	s_cvt_i32_f32 s0, s0
.LBB2_12:
	s_cvt_f32_i32 s1, s7
	s_delay_alu instid0(SALU_CYCLE_1)
	s_mul_f32 s11, s8, s8
	s_mov_b32 s14, 0xb94c1982
	s_mov_b32 s15, 0x37d75334
	s_mul_f32 s1, s1, 0x30000000
	s_fmaak_f32 s14, s11, s14, 0x3c0881c4
	s_fmaak_f32 s15, s11, s15, 0xbab64f3b
	s_delay_alu instid0(SALU_CYCLE_1) | instskip(NEXT) | instid1(SALU_CYCLE_1)
	s_bitset0_b32 s1, 31
	s_fmaak_f32 s14, s11, s14, 0xbe2aaa9d
	s_cmp_lt_f32 s1, 0x800000
	s_fmaak_f32 s15, s11, s15, 0x3d2aabf7
	s_cselect_b32 s7, 0x4f800000, 1.0
	s_wait_xcnt 0x0
	s_cselect_b32 s9, 0x41b17218, 0
	s_mul_f32 s1, s1, s7
	s_delay_alu instid0(SALU_CYCLE_3) | instskip(NEXT) | instid1(TRANS32_DEP_1)
	v_s_log_f32 s1, s1
	s_mul_f32 s7, s1, 0x3f317217
	s_and_b32 s10, s1, 0x7fffffff
	s_delay_alu instid0(SALU_CYCLE_2) | instskip(SKIP_2) | instid1(SALU_CYCLE_3)
	s_xor_b32 s7, s7, 0x80000000
	s_cmp_lt_f32 s10, 0x7f800000
	s_fmamk_f32 s7, s1, 0x3f317217, s7
	s_fmamk_f32 s7, s1, 0x3377d1cf, s7
	s_delay_alu instid0(SALU_CYCLE_3) | instskip(NEXT) | instid1(SALU_CYCLE_3)
	s_fmamk_f32 s7, s1, 0x3f317217, s7
	s_cselect_b32 s1, s7, s1
	s_delay_alu instid0(SALU_CYCLE_1) | instskip(SKIP_1) | instid1(SALU_CYCLE_2)
	s_sub_f32 s1, s1, s9
	s_cvt_f32_i32 s9, s12
	s_mul_f32 s1, s1, -2.0
	s_delay_alu instid0(SALU_CYCLE_2) | instskip(SKIP_1) | instid1(SALU_CYCLE_1)
	v_div_scale_f32 v1, null, s9, s9, 1.0
	v_div_scale_f32 v4, vcc_lo, 1.0, s9, 1.0
	s_mul_f32 s7, s1, 0x4f800000
	s_cmp_lt_f32 s1, 0xf800000
	v_rcp_f32_e32 v2, v1
	v_nop
	v_xor_b32_e32 v1, 0x80000000, v1
	s_cselect_b32 s7, s7, s1
	s_delay_alu instid0(SALU_CYCLE_1)
	v_s_sqrt_f32 s10, s7
	s_mov_b32 s17, s7
	s_delay_alu instid0(TRANS32_DEP_2) | instid1(VALU_DEP_1)
	v_fma_f32 v3, v1, v2, 1.0
	s_delay_alu instid0(VALU_DEP_1) | instskip(NEXT) | instid1(TRANS32_DEP_1)
	v_fmac_f32_e32 v2, v3, v2
	s_add_co_i32 s16, s10, -1
	s_delay_alu instid0(SALU_CYCLE_1) | instskip(NEXT) | instid1(SALU_CYCLE_1)
	s_xor_b32 s18, s16, 0x80000000
	s_fmac_f32 s17, s18, s10
	s_mov_b32 s18, s7
	s_delay_alu instid0(SALU_CYCLE_2) | instskip(SKIP_2) | instid1(SALU_CYCLE_1)
	s_cmp_le_f32 s17, 0
	s_cselect_b32 s16, s16, s10
	s_add_co_i32 s17, s10, 1
	s_xor_b32 s19, s17, 0x80000000
	s_delay_alu instid0(SALU_CYCLE_1)
	s_fmac_f32 s18, s19, s10
	s_mul_f32 s10, s11, s14
	s_fmaak_f32 s14, s11, s15, 0xbf000004
	v_cmp_class_f32_e64 s15, s7, 0x260
	s_cmp_gt_f32 s18, 0
	s_fmac_f32 s8, s8, s10
	s_fmaak_f32 s10, s11, s14, 0x3f800000
	s_cselect_b32 s16, s17, s16
	s_cmp_lt_f32 s1, 0xf800000
	s_mul_f32 s1, s16, 0x37800000
	s_delay_alu instid0(SALU_CYCLE_3)
	s_cselect_b32 s1, s1, s16
	s_and_b32 s11, s15, exec_lo
	s_cselect_b32 s1, s7, s1
	s_xor_b32 s7, s8, 0x80000000
	s_bitcmp0_b32 s0, 0
	s_cselect_b32 s7, s10, s7
	s_lshl_b32 s0, s0, 30
	s_delay_alu instid0(SALU_CYCLE_1) | instskip(NEXT) | instid1(SALU_CYCLE_1)
	s_and_b32 s0, s0, 0x80000000
	s_xor_b32 s0, s0, s7
	s_cmp_lg_f32 s6, 0x7f800000
	s_cselect_b32 s0, s0, 0x7fc00000
	s_delay_alu instid0(SALU_CYCLE_1) | instskip(SKIP_1) | instid1(VALU_DEP_1)
	s_mul_f32 s0, s1, s0
	v_mul_f32_e32 v3, v4, v2
	v_fma_f32 v5, v1, v3, v4
	s_delay_alu instid0(VALU_DEP_1) | instskip(NEXT) | instid1(VALU_DEP_1)
	v_fmac_f32_e32 v3, v5, v2
	v_fmac_f32_e32 v4, v1, v3
	s_delay_alu instid0(VALU_DEP_1) | instskip(SKIP_1) | instid1(VALU_DEP_2)
	v_div_fmas_f32 v1, v4, v2, v3
	v_mov_b32_e32 v2, 0
	v_div_fixup_f32 v1, v1, s9, 1.0
	s_delay_alu instid0(VALU_DEP_1)
	v_mul_f32_e32 v1, s0, v1
	global_store_b32 v2, v1, s[4:5]
.LBB2_13:
	s_wait_xcnt 0x0
	s_or_b32 exec_lo, exec_lo, s13
	s_wait_storecnt 0x0
	s_barrier_signal -1
	s_barrier_wait -1
	s_and_saveexec_b32 s0, s2
	s_cbranch_execz .LBB2_15
; %bb.14:
	v_mov_b32_e32 v1, 0
	global_load_b32 v2, v1, s[4:5]
	s_wait_loadcnt 0x0
	ds_store_b32 v1, v2 offset:4
.LBB2_15:
	s_or_b32 exec_lo, exec_lo, s0
	s_wait_dscnt 0x0
	s_barrier_signal -1
	s_barrier_wait -1
	s_and_saveexec_b32 s0, s3
	s_cbranch_execz .LBB2_17
; %bb.16:
	v_cvt_f32_i32_e32 v1, v0
	s_cvt_f32_i32 s0, s12
	v_mov_b32_e32 v6, 0
	s_delay_alu instid0(VALU_DEP_2) | instid1(SALU_CYCLE_2)
	v_div_scale_f32 v2, null, s0, s0, v1
	ds_load_b32 v6, v6 offset:4
	v_rcp_f32_e32 v3, v2
	v_nop
	s_delay_alu instid0(TRANS32_DEP_1) | instskip(NEXT) | instid1(VALU_DEP_1)
	v_fma_f32 v4, -v2, v3, 1.0
	v_fmac_f32_e32 v3, v4, v3
	v_div_scale_f32 v4, vcc_lo, v1, s0, v1
	s_delay_alu instid0(VALU_DEP_1) | instskip(NEXT) | instid1(VALU_DEP_1)
	v_mul_f32_e32 v5, v4, v3
	v_fma_f32 v7, -v2, v5, v4
	s_delay_alu instid0(VALU_DEP_1) | instskip(NEXT) | instid1(VALU_DEP_1)
	v_fmac_f32_e32 v5, v7, v3
	v_fma_f32 v2, -v2, v5, v4
	s_delay_alu instid0(VALU_DEP_1) | instskip(NEXT) | instid1(VALU_DEP_1)
	v_div_fmas_f32 v2, v2, v3, v5
	v_div_fixup_f32 v1, v2, s0, v1
	s_wait_dscnt 0x0
	s_delay_alu instid0(VALU_DEP_1)
	v_add_f32_e32 v1, v1, v6
	global_store_b32 v0, v1, s[4:5] scale_offset
.LBB2_17:
	s_endpgm
	.section	.rodata,"a",@progbits
	.p2align	6, 0x0
	.amdhsa_kernel _Z24kernel_normalize_weightsPfPKfS_S_Pii
		.amdhsa_group_segment_fixed_size 8
		.amdhsa_private_segment_fixed_size 0
		.amdhsa_kernarg_size 304
		.amdhsa_user_sgpr_count 2
		.amdhsa_user_sgpr_dispatch_ptr 0
		.amdhsa_user_sgpr_queue_ptr 0
		.amdhsa_user_sgpr_kernarg_segment_ptr 1
		.amdhsa_user_sgpr_dispatch_id 0
		.amdhsa_user_sgpr_kernarg_preload_length 0
		.amdhsa_user_sgpr_kernarg_preload_offset 0
		.amdhsa_user_sgpr_private_segment_size 0
		.amdhsa_wavefront_size32 1
		.amdhsa_uses_dynamic_stack 0
		.amdhsa_enable_private_segment 0
		.amdhsa_system_sgpr_workgroup_id_x 1
		.amdhsa_system_sgpr_workgroup_id_y 0
		.amdhsa_system_sgpr_workgroup_id_z 0
		.amdhsa_system_sgpr_workgroup_info 0
		.amdhsa_system_vgpr_workitem_id 0
		.amdhsa_next_free_vgpr 8
		.amdhsa_next_free_sgpr 26
		.amdhsa_named_barrier_count 0
		.amdhsa_reserve_vcc 1
		.amdhsa_float_round_mode_32 0
		.amdhsa_float_round_mode_16_64 0
		.amdhsa_float_denorm_mode_32 3
		.amdhsa_float_denorm_mode_16_64 3
		.amdhsa_fp16_overflow 0
		.amdhsa_memory_ordered 1
		.amdhsa_forward_progress 1
		.amdhsa_inst_pref_size 17
		.amdhsa_round_robin_scheduling 0
		.amdhsa_exception_fp_ieee_invalid_op 0
		.amdhsa_exception_fp_denorm_src 0
		.amdhsa_exception_fp_ieee_div_zero 0
		.amdhsa_exception_fp_ieee_overflow 0
		.amdhsa_exception_fp_ieee_underflow 0
		.amdhsa_exception_fp_ieee_inexact 0
		.amdhsa_exception_int_div_zero 0
	.end_amdhsa_kernel
	.text
.Lfunc_end2:
	.size	_Z24kernel_normalize_weightsPfPKfS_S_Pii, .Lfunc_end2-_Z24kernel_normalize_weightsPfPKfS_S_Pii
                                        ; -- End function
	.set _Z24kernel_normalize_weightsPfPKfS_S_Pii.num_vgpr, 8
	.set _Z24kernel_normalize_weightsPfPKfS_S_Pii.num_agpr, 0
	.set _Z24kernel_normalize_weightsPfPKfS_S_Pii.numbered_sgpr, 26
	.set _Z24kernel_normalize_weightsPfPKfS_S_Pii.num_named_barrier, 0
	.set _Z24kernel_normalize_weightsPfPKfS_S_Pii.private_seg_size, 0
	.set _Z24kernel_normalize_weightsPfPKfS_S_Pii.uses_vcc, 1
	.set _Z24kernel_normalize_weightsPfPKfS_S_Pii.uses_flat_scratch, 0
	.set _Z24kernel_normalize_weightsPfPKfS_S_Pii.has_dyn_sized_stack, 0
	.set _Z24kernel_normalize_weightsPfPKfS_S_Pii.has_recursion, 0
	.set _Z24kernel_normalize_weightsPfPKfS_S_Pii.has_indirect_call, 0
	.section	.AMDGPU.csdata,"",@progbits
; Kernel info:
; codeLenInByte = 2168
; TotalNumSgprs: 28
; NumVgprs: 8
; ScratchSize: 0
; MemoryBound: 0
; FloatMode: 240
; IeeeMode: 1
; LDSByteSize: 8 bytes/workgroup (compile time only)
; SGPRBlocks: 0
; VGPRBlocks: 0
; NumSGPRsForWavesPerEU: 28
; NumVGPRsForWavesPerEU: 8
; NamedBarCnt: 0
; Occupancy: 16
; WaveLimiterHint : 0
; COMPUTE_PGM_RSRC2:SCRATCH_EN: 0
; COMPUTE_PGM_RSRC2:USER_SGPR: 2
; COMPUTE_PGM_RSRC2:TRAP_HANDLER: 0
; COMPUTE_PGM_RSRC2:TGID_X_EN: 1
; COMPUTE_PGM_RSRC2:TGID_Y_EN: 0
; COMPUTE_PGM_RSRC2:TGID_Z_EN: 0
; COMPUTE_PGM_RSRC2:TIDIG_COMP_CNT: 0
	.text
	.protected	_Z10kernel_sumPfi       ; -- Begin function _Z10kernel_sumPfi
	.globl	_Z10kernel_sumPfi
	.p2align	8
	.type	_Z10kernel_sumPfi,@function
_Z10kernel_sumPfi:                      ; @_Z10kernel_sumPfi
; %bb.0:
	s_load_b96 s[0:2], s[0:1], 0x0
	s_wait_kmcnt 0x0
	s_cmp_lt_i32 s2, 1
	s_cbranch_scc1 .LBB3_4
; %bb.1:
	s_addk_co_i32 s2, 0xff
	s_mov_b32 s4, 0
	s_lshr_b32 s5, s2, 8
	s_mov_b64 s[2:3], s[0:1]
.LBB3_2:                                ; =>This Inner Loop Header: Depth=1
	s_load_b32 s6, s[2:3], 0x0
	s_add_co_i32 s5, s5, -1
	s_wait_xcnt 0x0
	s_add_nc_u64 s[2:3], s[2:3], 4
	s_cmp_lg_u32 s5, 0
	s_wait_kmcnt 0x0
	s_add_f32 s4, s4, s6
	s_cbranch_scc1 .LBB3_2
; %bb.3:
	s_delay_alu instid0(SALU_CYCLE_2)
	v_dual_mov_b32 v0, 0 :: v_dual_mov_b32 v1, s4
	global_store_b32 v0, v1, s[0:1]
	s_endpgm
.LBB3_4:
	s_mov_b32 s4, 0
	s_delay_alu instid0(SALU_CYCLE_1)
	v_dual_mov_b32 v0, 0 :: v_dual_mov_b32 v1, s4
	global_store_b32 v0, v1, s[0:1]
	s_endpgm
	.section	.rodata,"a",@progbits
	.p2align	6, 0x0
	.amdhsa_kernel _Z10kernel_sumPfi
		.amdhsa_group_segment_fixed_size 0
		.amdhsa_private_segment_fixed_size 0
		.amdhsa_kernarg_size 12
		.amdhsa_user_sgpr_count 2
		.amdhsa_user_sgpr_dispatch_ptr 0
		.amdhsa_user_sgpr_queue_ptr 0
		.amdhsa_user_sgpr_kernarg_segment_ptr 1
		.amdhsa_user_sgpr_dispatch_id 0
		.amdhsa_user_sgpr_kernarg_preload_length 0
		.amdhsa_user_sgpr_kernarg_preload_offset 0
		.amdhsa_user_sgpr_private_segment_size 0
		.amdhsa_wavefront_size32 1
		.amdhsa_uses_dynamic_stack 0
		.amdhsa_enable_private_segment 0
		.amdhsa_system_sgpr_workgroup_id_x 1
		.amdhsa_system_sgpr_workgroup_id_y 0
		.amdhsa_system_sgpr_workgroup_id_z 0
		.amdhsa_system_sgpr_workgroup_info 0
		.amdhsa_system_vgpr_workitem_id 0
		.amdhsa_next_free_vgpr 2
		.amdhsa_next_free_sgpr 7
		.amdhsa_named_barrier_count 0
		.amdhsa_reserve_vcc 0
		.amdhsa_float_round_mode_32 0
		.amdhsa_float_round_mode_16_64 0
		.amdhsa_float_denorm_mode_32 3
		.amdhsa_float_denorm_mode_16_64 3
		.amdhsa_fp16_overflow 0
		.amdhsa_memory_ordered 1
		.amdhsa_forward_progress 1
		.amdhsa_inst_pref_size 2
		.amdhsa_round_robin_scheduling 0
		.amdhsa_exception_fp_ieee_invalid_op 0
		.amdhsa_exception_fp_denorm_src 0
		.amdhsa_exception_fp_ieee_div_zero 0
		.amdhsa_exception_fp_ieee_overflow 0
		.amdhsa_exception_fp_ieee_underflow 0
		.amdhsa_exception_fp_ieee_inexact 0
		.amdhsa_exception_int_div_zero 0
	.end_amdhsa_kernel
	.text
.Lfunc_end3:
	.size	_Z10kernel_sumPfi, .Lfunc_end3-_Z10kernel_sumPfi
                                        ; -- End function
	.set _Z10kernel_sumPfi.num_vgpr, 2
	.set _Z10kernel_sumPfi.num_agpr, 0
	.set _Z10kernel_sumPfi.numbered_sgpr, 7
	.set _Z10kernel_sumPfi.num_named_barrier, 0
	.set _Z10kernel_sumPfi.private_seg_size, 0
	.set _Z10kernel_sumPfi.uses_vcc, 0
	.set _Z10kernel_sumPfi.uses_flat_scratch, 0
	.set _Z10kernel_sumPfi.has_dyn_sized_stack, 0
	.set _Z10kernel_sumPfi.has_recursion, 0
	.set _Z10kernel_sumPfi.has_indirect_call, 0
	.section	.AMDGPU.csdata,"",@progbits
; Kernel info:
; codeLenInByte = 132
; TotalNumSgprs: 7
; NumVgprs: 2
; ScratchSize: 0
; MemoryBound: 0
; FloatMode: 240
; IeeeMode: 1
; LDSByteSize: 0 bytes/workgroup (compile time only)
; SGPRBlocks: 0
; VGPRBlocks: 0
; NumSGPRsForWavesPerEU: 7
; NumVGPRsForWavesPerEU: 2
; NamedBarCnt: 0
; Occupancy: 16
; WaveLimiterHint : 0
; COMPUTE_PGM_RSRC2:SCRATCH_EN: 0
; COMPUTE_PGM_RSRC2:USER_SGPR: 2
; COMPUTE_PGM_RSRC2:TRAP_HANDLER: 0
; COMPUTE_PGM_RSRC2:TGID_X_EN: 1
; COMPUTE_PGM_RSRC2:TGID_Y_EN: 0
; COMPUTE_PGM_RSRC2:TGID_Z_EN: 0
; COMPUTE_PGM_RSRC2:TIDIG_COMP_CNT: 0
	.text
	.p2alignl 7, 3214868480
	.fill 96, 4, 3214868480
	.section	.AMDGPU.gpr_maximums,"",@progbits
	.set amdgpu.max_num_vgpr, 0
	.set amdgpu.max_num_agpr, 0
	.set amdgpu.max_num_sgpr, 0
	.text
	.type	__hip_cuid_6235624589ab3458,@object ; @__hip_cuid_6235624589ab3458
	.section	.bss,"aw",@nobits
	.globl	__hip_cuid_6235624589ab3458
__hip_cuid_6235624589ab3458:
	.byte	0                               ; 0x0
	.size	__hip_cuid_6235624589ab3458, 1

	.ident	"AMD clang version 22.0.0git (https://github.com/RadeonOpenCompute/llvm-project roc-7.2.4 26084 f58b06dce1f9c15707c5f808fd002e18c2accf7e)"
	.section	".note.GNU-stack","",@progbits
	.addrsig
	.addrsig_sym __hip_cuid_6235624589ab3458
	.amdgpu_metadata
---
amdhsa.kernels:
  - .args:
      - .actual_access:  read_only
        .address_space:  global
        .offset:         0
        .size:           8
        .value_kind:     global_buffer
      - .actual_access:  read_only
        .address_space:  global
        .offset:         8
        .size:           8
        .value_kind:     global_buffer
      - .actual_access:  read_only
        .address_space:  global
        .offset:         16
        .size:           8
        .value_kind:     global_buffer
      - .actual_access:  read_only
        .address_space:  global
        .offset:         24
        .size:           8
        .value_kind:     global_buffer
      - .actual_access:  write_only
        .address_space:  global
        .offset:         32
        .size:           8
        .value_kind:     global_buffer
      - .actual_access:  write_only
        .address_space:  global
        .offset:         40
        .size:           8
        .value_kind:     global_buffer
      - .offset:         48
        .size:           4
        .value_kind:     by_value
      - .offset:         56
        .size:           4
        .value_kind:     hidden_block_count_x
      - .offset:         60
        .size:           4
        .value_kind:     hidden_block_count_y
      - .offset:         64
        .size:           4
        .value_kind:     hidden_block_count_z
      - .offset:         68
        .size:           2
        .value_kind:     hidden_group_size_x
      - .offset:         70
        .size:           2
        .value_kind:     hidden_group_size_y
      - .offset:         72
        .size:           2
        .value_kind:     hidden_group_size_z
      - .offset:         74
        .size:           2
        .value_kind:     hidden_remainder_x
      - .offset:         76
        .size:           2
        .value_kind:     hidden_remainder_y
      - .offset:         78
        .size:           2
        .value_kind:     hidden_remainder_z
      - .offset:         96
        .size:           8
        .value_kind:     hidden_global_offset_x
      - .offset:         104
        .size:           8
        .value_kind:     hidden_global_offset_y
      - .offset:         112
        .size:           8
        .value_kind:     hidden_global_offset_z
      - .offset:         120
        .size:           2
        .value_kind:     hidden_grid_dims
    .group_segment_fixed_size: 0
    .kernarg_segment_align: 8
    .kernarg_segment_size: 312
    .language:       OpenCL C
    .language_version:
      - 2
      - 0
    .max_flat_workgroup_size: 1024
    .name:           _Z17kernel_find_indexPKfS0_S0_S0_PfS1_i
    .private_segment_fixed_size: 0
    .sgpr_count:     16
    .sgpr_spill_count: 0
    .symbol:         _Z17kernel_find_indexPKfS0_S0_S0_PfS1_i.kd
    .uniform_work_group_size: 1
    .uses_dynamic_stack: false
    .vgpr_count:     6
    .vgpr_spill_count: 0
    .wavefront_size: 32
  - .args:
      - .address_space:  global
        .offset:         0
        .size:           8
        .value_kind:     global_buffer
      - .address_space:  global
        .offset:         8
        .size:           8
        .value_kind:     global_buffer
      - .actual_access:  read_only
        .address_space:  global
        .offset:         16
        .size:           8
        .value_kind:     global_buffer
      - .actual_access:  read_only
        .address_space:  global
        .offset:         24
        .size:           8
        .value_kind:     global_buffer
      - .address_space:  global
        .offset:         32
        .size:           8
        .value_kind:     global_buffer
      - .actual_access:  read_only
        .address_space:  global
        .offset:         40
        .size:           8
        .value_kind:     global_buffer
      - .actual_access:  write_only
        .address_space:  global
        .offset:         48
        .size:           8
        .value_kind:     global_buffer
      - .actual_access:  read_only
        .address_space:  global
        .offset:         56
        .size:           8
        .value_kind:     global_buffer
      - .address_space:  global
        .offset:         64
        .size:           8
        .value_kind:     global_buffer
      - .address_space:  global
        .offset:         72
        .size:           8
        .value_kind:     global_buffer
      - .actual_access:  write_only
        .address_space:  global
        .offset:         80
        .size:           8
        .value_kind:     global_buffer
      - .offset:         88
        .size:           4
        .value_kind:     by_value
      - .offset:         92
        .size:           4
        .value_kind:     by_value
      - .offset:         96
        .size:           4
        .value_kind:     by_value
      - .offset:         100
        .size:           4
        .value_kind:     by_value
      - .offset:         104
        .size:           4
        .value_kind:     by_value
      - .offset:         108
        .size:           4
        .value_kind:     by_value
      - .offset:         112
        .size:           4
        .value_kind:     hidden_block_count_x
      - .offset:         116
        .size:           4
        .value_kind:     hidden_block_count_y
      - .offset:         120
        .size:           4
        .value_kind:     hidden_block_count_z
      - .offset:         124
        .size:           2
        .value_kind:     hidden_group_size_x
      - .offset:         126
        .size:           2
        .value_kind:     hidden_group_size_y
      - .offset:         128
        .size:           2
        .value_kind:     hidden_group_size_z
      - .offset:         130
        .size:           2
        .value_kind:     hidden_remainder_x
      - .offset:         132
        .size:           2
        .value_kind:     hidden_remainder_y
      - .offset:         134
        .size:           2
        .value_kind:     hidden_remainder_z
      - .offset:         152
        .size:           8
        .value_kind:     hidden_global_offset_x
      - .offset:         160
        .size:           8
        .value_kind:     hidden_global_offset_y
      - .offset:         168
        .size:           8
        .value_kind:     hidden_global_offset_z
      - .offset:         176
        .size:           2
        .value_kind:     hidden_grid_dims
    .group_segment_fixed_size: 1024
    .kernarg_segment_align: 8
    .kernarg_segment_size: 368
    .language:       OpenCL C
    .language_version:
      - 2
      - 0
    .max_flat_workgroup_size: 1024
    .name:           _Z17kernel_likelihoodPfS_PKfS1_PiPKiS_PKhS_S2_S_iiiiii
    .private_segment_fixed_size: 0
    .sgpr_count:     44
    .sgpr_spill_count: 0
    .symbol:         _Z17kernel_likelihoodPfS_PKfS1_PiPKiS_PKhS_S2_S_iiiiii.kd
    .uniform_work_group_size: 1
    .uses_dynamic_stack: false
    .vgpr_count:     24
    .vgpr_spill_count: 0
    .wavefront_size: 32
  - .args:
      - .address_space:  global
        .offset:         0
        .size:           8
        .value_kind:     global_buffer
      - .actual_access:  read_only
        .address_space:  global
        .offset:         8
        .size:           8
        .value_kind:     global_buffer
      - .address_space:  global
        .offset:         16
        .size:           8
        .value_kind:     global_buffer
      - .address_space:  global
        .offset:         24
        .size:           8
        .value_kind:     global_buffer
      - .address_space:  global
        .offset:         32
        .size:           8
        .value_kind:     global_buffer
      - .offset:         40
        .size:           4
        .value_kind:     by_value
      - .offset:         48
        .size:           4
        .value_kind:     hidden_block_count_x
      - .offset:         52
        .size:           4
        .value_kind:     hidden_block_count_y
      - .offset:         56
        .size:           4
        .value_kind:     hidden_block_count_z
      - .offset:         60
        .size:           2
        .value_kind:     hidden_group_size_x
      - .offset:         62
        .size:           2
        .value_kind:     hidden_group_size_y
      - .offset:         64
        .size:           2
        .value_kind:     hidden_group_size_z
      - .offset:         66
        .size:           2
        .value_kind:     hidden_remainder_x
      - .offset:         68
        .size:           2
        .value_kind:     hidden_remainder_y
      - .offset:         70
        .size:           2
        .value_kind:     hidden_remainder_z
      - .offset:         88
        .size:           8
        .value_kind:     hidden_global_offset_x
      - .offset:         96
        .size:           8
        .value_kind:     hidden_global_offset_y
      - .offset:         104
        .size:           8
        .value_kind:     hidden_global_offset_z
      - .offset:         112
        .size:           2
        .value_kind:     hidden_grid_dims
    .group_segment_fixed_size: 8
    .kernarg_segment_align: 8
    .kernarg_segment_size: 304
    .language:       OpenCL C
    .language_version:
      - 2
      - 0
    .max_flat_workgroup_size: 1024
    .name:           _Z24kernel_normalize_weightsPfPKfS_S_Pii
    .private_segment_fixed_size: 0
    .sgpr_count:     28
    .sgpr_spill_count: 0
    .symbol:         _Z24kernel_normalize_weightsPfPKfS_S_Pii.kd
    .uniform_work_group_size: 1
    .uses_dynamic_stack: false
    .vgpr_count:     8
    .vgpr_spill_count: 0
    .wavefront_size: 32
  - .args:
      - .address_space:  global
        .offset:         0
        .size:           8
        .value_kind:     global_buffer
      - .offset:         8
        .size:           4
        .value_kind:     by_value
    .group_segment_fixed_size: 0
    .kernarg_segment_align: 8
    .kernarg_segment_size: 12
    .language:       OpenCL C
    .language_version:
      - 2
      - 0
    .max_flat_workgroup_size: 1024
    .name:           _Z10kernel_sumPfi
    .private_segment_fixed_size: 0
    .sgpr_count:     7
    .sgpr_spill_count: 0
    .symbol:         _Z10kernel_sumPfi.kd
    .uniform_work_group_size: 1
    .uses_dynamic_stack: false
    .vgpr_count:     2
    .vgpr_spill_count: 0
    .wavefront_size: 32
amdhsa.target:   amdgcn-amd-amdhsa--gfx1250
amdhsa.version:
  - 1
  - 2
...

	.end_amdgpu_metadata
